;; amdgpu-corpus repo=ROCm/rocBLAS kind=compiled arch=gfx906 opt=O3
	.amdgcn_target "amdgcn-amd-amdhsa--gfx906"
	.amdhsa_code_object_version 6
	.section	.text._ZL30rocblas_reduction_kernel_part1IiLi512ELi4E18rocblas_fetch_asumIfEPKffEviiT3_lT_liPT4_,"axG",@progbits,_ZL30rocblas_reduction_kernel_part1IiLi512ELi4E18rocblas_fetch_asumIfEPKffEviiT3_lT_liPT4_,comdat
	.globl	_ZL30rocblas_reduction_kernel_part1IiLi512ELi4E18rocblas_fetch_asumIfEPKffEviiT3_lT_liPT4_ ; -- Begin function _ZL30rocblas_reduction_kernel_part1IiLi512ELi4E18rocblas_fetch_asumIfEPKffEviiT3_lT_liPT4_
	.p2align	8
	.type	_ZL30rocblas_reduction_kernel_part1IiLi512ELi4E18rocblas_fetch_asumIfEPKffEviiT3_lT_liPT4_,@function
_ZL30rocblas_reduction_kernel_part1IiLi512ELi4E18rocblas_fetch_asumIfEPKffEviiT3_lT_liPT4_: ; @_ZL30rocblas_reduction_kernel_part1IiLi512ELi4E18rocblas_fetch_asumIfEPKffEviiT3_lT_liPT4_
; %bb.0:
	s_load_dwordx2 s[2:3], s[4:5], 0x0
	v_lshl_or_b32 v1, s6, 9, v0
	v_mov_b32_e32 v2, 0
	s_waitcnt lgkmcnt(0)
	s_ashr_i32 s9, s2, 31
	s_mov_b32 s8, s2
	v_cmp_gt_i64_e32 vcc, s[8:9], v[1:2]
	s_mov_b32 s2, 0
	s_and_saveexec_b64 s[10:11], vcc
	s_cbranch_execz .LBB0_4
; %bb.1:
	s_load_dword s17, s[4:5], 0x18
	s_load_dword s16, s[4:5], 0x38
	s_load_dwordx4 s[12:15], s[4:5], 0x8
	s_load_dwordx2 s[0:1], s[4:5], 0x20
	s_waitcnt lgkmcnt(0)
	v_mad_u64_u32 v[5:6], s[18:19], s17, v1, 0
	s_lshl_b32 s16, s16, 9
	s_ashr_i32 s21, s16, 31
	v_mov_b32_e32 v2, s21
	v_add_co_u32_e32 v3, vcc, s16, v1
	s_ashr_i32 s20, s17, 31
	v_addc_co_u32_e32 v4, vcc, 0, v2, vcc
	v_mov_b32_e32 v2, v6
	s_mul_i32 s1, s1, s7
	s_mul_hi_u32 s22, s0, s7
	v_mad_u64_u32 v[1:2], s[18:19], s20, v1, v[2:3]
	s_add_i32 s1, s22, s1
	s_mul_i32 s0, s0, s7
	s_lshl_b64 s[0:1], s[0:1], 2
	s_lshl_b64 s[14:15], s[14:15], 2
	s_add_u32 s12, s12, s14
	v_mov_b32_e32 v6, v1
	s_addc_u32 s13, s13, s15
	v_lshlrev_b64 v[1:2], 2, v[5:6]
	s_add_u32 s0, s12, s0
	s_addc_u32 s1, s13, s1
	v_mov_b32_e32 v6, s1
	v_add_co_u32_e32 v5, vcc, s0, v1
	s_mul_hi_i32 s1, s17, s16
	s_mul_i32 s0, s17, s16
	s_lshl_b64 s[12:13], s[0:1], 2
	v_addc_co_u32_e32 v6, vcc, v6, v2, vcc
	v_mov_b32_e32 v2, 0
	s_mov_b64 s[14:15], 0
	v_mov_b32_e32 v1, s21
	v_mov_b32_e32 v7, s13
.LBB0_2:                                ; =>This Inner Loop Header: Depth=1
	global_load_dword v8, v[5:6], off
	v_cmp_le_i64_e32 vcc, s[8:9], v[3:4]
	v_add_co_u32_e64 v3, s[0:1], s16, v3
	v_addc_co_u32_e64 v4, s[0:1], v4, v1, s[0:1]
	s_add_i32 s13, s2, 1
	v_add_co_u32_e64 v5, s[0:1], s12, v5
	v_addc_co_u32_e64 v6, s[0:1], v6, v7, s[0:1]
	s_cmp_gt_u32 s2, 2
	s_cselect_b64 s[0:1], -1, 0
	s_or_b64 s[0:1], s[0:1], vcc
	s_and_b64 s[0:1], exec, s[0:1]
	s_mov_b32 s2, s13
	s_or_b64 s[14:15], s[0:1], s[14:15]
	s_waitcnt vmcnt(0)
	v_cmp_gt_f32_e32 vcc, 0, v8
	v_cndmask_b32_e64 v8, v8, -v8, vcc
	v_add_f32_e32 v2, v2, v8
	s_andn2_b64 exec, exec, s[14:15]
	s_cbranch_execnz .LBB0_2
; %bb.3:
	s_or_b64 exec, exec, s[14:15]
.LBB0_4:
	s_or_b64 exec, exec, s[10:11]
	v_and_b32_e32 v3, 63, v0
	v_cmp_gt_u32_e32 vcc, 64, v0
	v_lshlrev_b32_e32 v1, 2, v3
	s_and_saveexec_b64 s[0:1], vcc
; %bb.5:
	v_mov_b32_e32 v4, 0
	ds_write_b32 v1, v4
; %bb.6:
	s_or_b64 exec, exec, s[0:1]
	v_mbcnt_lo_u32_b32 v4, -1, 0
	v_mbcnt_hi_u32_b32 v5, -1, v4
	v_mov_b32_e32 v4, 0x80
	v_lshl_or_b32 v4, v5, 2, v4
	ds_bpermute_b32 v4, v4, v2
	v_and_b32_e32 v6, 63, v5
	v_cmp_gt_u32_e64 s[0:1], 48, v6
	v_cndmask_b32_e64 v7, 0, 16, s[0:1]
	v_cmp_gt_u32_e64 s[0:1], 56, v6
	s_waitcnt lgkmcnt(0)
	v_add_f32_e32 v2, v2, v4
	v_add_lshl_u32 v4, v7, v5, 2
	ds_bpermute_b32 v4, v4, v2
	v_cndmask_b32_e64 v7, 0, 8, s[0:1]
	v_add_lshl_u32 v7, v7, v5, 2
	v_cmp_gt_u32_e64 s[0:1], 60, v6
	s_waitcnt lgkmcnt(0)
	v_add_f32_e32 v4, v2, v4
	ds_bpermute_b32 v7, v7, v4
	v_cndmask_b32_e64 v2, 0, 4, s[0:1]
	v_add_lshl_u32 v2, v2, v5, 2
	v_cmp_gt_u32_e64 s[0:1], 62, v6
	s_waitcnt lgkmcnt(0)
	s_barrier
	v_add_f32_e32 v7, v4, v7
	ds_bpermute_b32 v8, v2, v7
	v_cndmask_b32_e64 v4, 0, 2, s[0:1]
	v_add_lshl_u32 v4, v4, v5, 2
	v_cmp_ne_u32_e64 s[0:1], 63, v6
	v_addc_co_u32_e64 v5, s[0:1], 0, v5, s[0:1]
	s_waitcnt lgkmcnt(0)
	v_add_f32_e32 v7, v7, v8
	ds_bpermute_b32 v8, v4, v7
	v_lshlrev_b32_e32 v5, 2, v5
	v_cmp_eq_u32_e64 s[0:1], 0, v3
	s_waitcnt lgkmcnt(0)
	v_add_f32_e32 v6, v7, v8
	ds_bpermute_b32 v7, v5, v6
	s_and_saveexec_b64 s[8:9], s[0:1]
	s_cbranch_execz .LBB0_8
; %bb.7:
	s_waitcnt lgkmcnt(0)
	v_add_f32_e32 v3, v6, v7
	v_lshrrev_b32_e32 v6, 4, v0
	v_and_b32_e32 v6, 28, v6
	ds_write_b32 v6, v3
.LBB0_8:
	s_or_b64 exec, exec, s[8:9]
	v_cmp_gt_u32_e64 s[0:1], 8, v0
	v_mov_b32_e32 v3, 0
	s_waitcnt lgkmcnt(0)
	s_barrier
	s_and_saveexec_b64 s[8:9], s[0:1]
; %bb.9:
	ds_read_b32 v3, v1
; %bb.10:
	s_or_b64 exec, exec, s[8:9]
	s_and_saveexec_b64 s[0:1], vcc
	s_cbranch_execz .LBB0_12
; %bb.11:
	s_waitcnt lgkmcnt(0)
	ds_bpermute_b32 v1, v2, v3
	s_waitcnt lgkmcnt(0)
	v_add_f32_e32 v1, v3, v1
	ds_bpermute_b32 v2, v4, v1
	s_waitcnt lgkmcnt(0)
	v_add_f32_e32 v1, v1, v2
	;; [unrolled: 3-line block ×3, first 2 shown]
.LBB0_12:
	s_or_b64 exec, exec, s[0:1]
	s_mov_b32 s1, 0
	v_cmp_eq_u32_e32 vcc, 0, v0
	s_and_saveexec_b64 s[8:9], vcc
	s_cbranch_execz .LBB0_14
; %bb.13:
	s_load_dwordx2 s[4:5], s[4:5], 0x30
	s_mul_i32 s0, s3, s7
	s_add_i32 s0, s0, s6
	s_lshl_b64 s[0:1], s[0:1], 2
	v_mov_b32_e32 v0, 0
	s_waitcnt lgkmcnt(0)
	s_add_u32 s0, s4, s0
	s_addc_u32 s1, s5, s1
	global_store_dword v0, v3, s[0:1]
.LBB0_14:
	s_endpgm
	.section	.rodata,"a",@progbits
	.p2align	6, 0x0
	.amdhsa_kernel _ZL30rocblas_reduction_kernel_part1IiLi512ELi4E18rocblas_fetch_asumIfEPKffEviiT3_lT_liPT4_
		.amdhsa_group_segment_fixed_size 256
		.amdhsa_private_segment_fixed_size 0
		.amdhsa_kernarg_size 312
		.amdhsa_user_sgpr_count 6
		.amdhsa_user_sgpr_private_segment_buffer 1
		.amdhsa_user_sgpr_dispatch_ptr 0
		.amdhsa_user_sgpr_queue_ptr 0
		.amdhsa_user_sgpr_kernarg_segment_ptr 1
		.amdhsa_user_sgpr_dispatch_id 0
		.amdhsa_user_sgpr_flat_scratch_init 0
		.amdhsa_user_sgpr_private_segment_size 0
		.amdhsa_uses_dynamic_stack 0
		.amdhsa_system_sgpr_private_segment_wavefront_offset 0
		.amdhsa_system_sgpr_workgroup_id_x 1
		.amdhsa_system_sgpr_workgroup_id_y 0
		.amdhsa_system_sgpr_workgroup_id_z 1
		.amdhsa_system_sgpr_workgroup_info 0
		.amdhsa_system_vgpr_workitem_id 0
		.amdhsa_next_free_vgpr 9
		.amdhsa_next_free_sgpr 23
		.amdhsa_reserve_vcc 1
		.amdhsa_reserve_flat_scratch 0
		.amdhsa_float_round_mode_32 0
		.amdhsa_float_round_mode_16_64 0
		.amdhsa_float_denorm_mode_32 3
		.amdhsa_float_denorm_mode_16_64 3
		.amdhsa_dx10_clamp 1
		.amdhsa_ieee_mode 1
		.amdhsa_fp16_overflow 0
		.amdhsa_exception_fp_ieee_invalid_op 0
		.amdhsa_exception_fp_denorm_src 0
		.amdhsa_exception_fp_ieee_div_zero 0
		.amdhsa_exception_fp_ieee_overflow 0
		.amdhsa_exception_fp_ieee_underflow 0
		.amdhsa_exception_fp_ieee_inexact 0
		.amdhsa_exception_int_div_zero 0
	.end_amdhsa_kernel
	.section	.text._ZL30rocblas_reduction_kernel_part1IiLi512ELi4E18rocblas_fetch_asumIfEPKffEviiT3_lT_liPT4_,"axG",@progbits,_ZL30rocblas_reduction_kernel_part1IiLi512ELi4E18rocblas_fetch_asumIfEPKffEviiT3_lT_liPT4_,comdat
.Lfunc_end0:
	.size	_ZL30rocblas_reduction_kernel_part1IiLi512ELi4E18rocblas_fetch_asumIfEPKffEviiT3_lT_liPT4_, .Lfunc_end0-_ZL30rocblas_reduction_kernel_part1IiLi512ELi4E18rocblas_fetch_asumIfEPKffEviiT3_lT_liPT4_
                                        ; -- End function
	.set _ZL30rocblas_reduction_kernel_part1IiLi512ELi4E18rocblas_fetch_asumIfEPKffEviiT3_lT_liPT4_.num_vgpr, 9
	.set _ZL30rocblas_reduction_kernel_part1IiLi512ELi4E18rocblas_fetch_asumIfEPKffEviiT3_lT_liPT4_.num_agpr, 0
	.set _ZL30rocblas_reduction_kernel_part1IiLi512ELi4E18rocblas_fetch_asumIfEPKffEviiT3_lT_liPT4_.numbered_sgpr, 23
	.set _ZL30rocblas_reduction_kernel_part1IiLi512ELi4E18rocblas_fetch_asumIfEPKffEviiT3_lT_liPT4_.num_named_barrier, 0
	.set _ZL30rocblas_reduction_kernel_part1IiLi512ELi4E18rocblas_fetch_asumIfEPKffEviiT3_lT_liPT4_.private_seg_size, 0
	.set _ZL30rocblas_reduction_kernel_part1IiLi512ELi4E18rocblas_fetch_asumIfEPKffEviiT3_lT_liPT4_.uses_vcc, 1
	.set _ZL30rocblas_reduction_kernel_part1IiLi512ELi4E18rocblas_fetch_asumIfEPKffEviiT3_lT_liPT4_.uses_flat_scratch, 0
	.set _ZL30rocblas_reduction_kernel_part1IiLi512ELi4E18rocblas_fetch_asumIfEPKffEviiT3_lT_liPT4_.has_dyn_sized_stack, 0
	.set _ZL30rocblas_reduction_kernel_part1IiLi512ELi4E18rocblas_fetch_asumIfEPKffEviiT3_lT_liPT4_.has_recursion, 0
	.set _ZL30rocblas_reduction_kernel_part1IiLi512ELi4E18rocblas_fetch_asumIfEPKffEviiT3_lT_liPT4_.has_indirect_call, 0
	.section	.AMDGPU.csdata,"",@progbits
; Kernel info:
; codeLenInByte = 812
; TotalNumSgprs: 27
; NumVgprs: 9
; ScratchSize: 0
; MemoryBound: 0
; FloatMode: 240
; IeeeMode: 1
; LDSByteSize: 256 bytes/workgroup (compile time only)
; SGPRBlocks: 3
; VGPRBlocks: 2
; NumSGPRsForWavesPerEU: 27
; NumVGPRsForWavesPerEU: 9
; Occupancy: 10
; WaveLimiterHint : 0
; COMPUTE_PGM_RSRC2:SCRATCH_EN: 0
; COMPUTE_PGM_RSRC2:USER_SGPR: 6
; COMPUTE_PGM_RSRC2:TRAP_HANDLER: 0
; COMPUTE_PGM_RSRC2:TGID_X_EN: 1
; COMPUTE_PGM_RSRC2:TGID_Y_EN: 0
; COMPUTE_PGM_RSRC2:TGID_Z_EN: 1
; COMPUTE_PGM_RSRC2:TIDIG_COMP_CNT: 0
	.section	.text._ZL30rocblas_reduction_kernel_part2ILi512ELi4E25rocblas_finalize_identityffEviPT2_PT3_,"axG",@progbits,_ZL30rocblas_reduction_kernel_part2ILi512ELi4E25rocblas_finalize_identityffEviPT2_PT3_,comdat
	.globl	_ZL30rocblas_reduction_kernel_part2ILi512ELi4E25rocblas_finalize_identityffEviPT2_PT3_ ; -- Begin function _ZL30rocblas_reduction_kernel_part2ILi512ELi4E25rocblas_finalize_identityffEviPT2_PT3_
	.p2align	8
	.type	_ZL30rocblas_reduction_kernel_part2ILi512ELi4E25rocblas_finalize_identityffEviPT2_PT3_,@function
_ZL30rocblas_reduction_kernel_part2ILi512ELi4E25rocblas_finalize_identityffEviPT2_PT3_: ; @_ZL30rocblas_reduction_kernel_part2ILi512ELi4E25rocblas_finalize_identityffEviPT2_PT3_
; %bb.0:
	s_load_dword s12, s[4:5], 0x0
	s_load_dwordx4 s[0:3], s[4:5], 0x8
	v_lshlrev_b32_e32 v4, 2, v0
	s_mov_b32 s7, 0
	v_mov_b32_e32 v3, 0
	s_waitcnt lgkmcnt(0)
	s_ashr_i32 s8, s12, 31
	s_mul_i32 s5, s8, s6
	s_lshr_b32 s8, s8, 30
	s_add_i32 s8, s12, s8
	s_mul_hi_u32 s4, s12, s6
	s_and_b32 s13, s8, -4
	s_add_i32 s5, s4, s5
	s_mul_i32 s4, s12, s6
	v_cmp_gt_i32_e32 vcc, s13, v4
	s_and_saveexec_b64 s[8:9], vcc
	s_cbranch_execz .LBB1_4
; %bb.1:
	s_lshl_b64 s[10:11], s[4:5], 2
	s_add_u32 s10, s0, s10
	v_lshlrev_b32_e32 v1, 4, v0
	s_addc_u32 s11, s1, s11
	v_mov_b32_e32 v2, s11
	v_add_co_u32_e32 v1, vcc, s10, v1
	v_addc_co_u32_e32 v2, vcc, 0, v2, vcc
	v_add_co_u32_e32 v1, vcc, 8, v1
	v_mov_b32_e32 v3, 0
	v_addc_co_u32_e32 v2, vcc, 0, v2, vcc
	s_mov_b64 s[10:11], 0
.LBB1_2:                                ; =>This Inner Loop Header: Depth=1
	global_load_dwordx4 v[5:8], v[1:2], off offset:-8
	v_add_co_u32_e32 v1, vcc, 0x2000, v1
	v_add_u32_e32 v4, 0x800, v4
	v_addc_co_u32_e32 v2, vcc, 0, v2, vcc
	v_cmp_le_i32_e32 vcc, s13, v4
	s_or_b64 s[10:11], vcc, s[10:11]
	s_waitcnt vmcnt(0)
	v_add_f32_e32 v3, v3, v5
	v_add_f32_e32 v3, v3, v6
	;; [unrolled: 1-line block ×4, first 2 shown]
	s_andn2_b64 exec, exec, s[10:11]
	s_cbranch_execnz .LBB1_2
; %bb.3:
	s_or_b64 exec, exec, s[10:11]
.LBB1_4:
	s_or_b64 exec, exec, s[8:9]
	s_sub_i32 s8, s12, s13
	v_cmp_gt_u32_e32 vcc, s8, v0
	s_and_saveexec_b64 s[8:9], vcc
	s_cbranch_execz .LBB1_6
; %bb.5:
	s_lshl_b64 s[4:5], s[4:5], 2
	v_xad_u32 v1, v0, -1, s12
	v_mov_b32_e32 v2, 0
	s_add_u32 s0, s0, s4
	v_lshlrev_b64 v[1:2], 2, v[1:2]
	s_addc_u32 s1, s1, s5
	v_mov_b32_e32 v4, s1
	v_add_co_u32_e32 v1, vcc, s0, v1
	v_addc_co_u32_e32 v2, vcc, v4, v2, vcc
	global_load_dword v1, v[1:2], off
	s_waitcnt vmcnt(0)
	v_add_f32_e32 v3, v3, v1
.LBB1_6:
	s_or_b64 exec, exec, s[8:9]
	v_and_b32_e32 v2, 63, v0
	v_cmp_gt_u32_e32 vcc, 64, v0
	v_lshlrev_b32_e32 v1, 2, v2
	s_and_saveexec_b64 s[0:1], vcc
; %bb.7:
	v_mov_b32_e32 v4, 0
	ds_write_b32 v1, v4
; %bb.8:
	s_or_b64 exec, exec, s[0:1]
	v_mbcnt_lo_u32_b32 v4, -1, 0
	v_mbcnt_hi_u32_b32 v5, -1, v4
	v_mov_b32_e32 v4, 0x80
	v_lshl_or_b32 v4, v5, 2, v4
	ds_bpermute_b32 v4, v4, v3
	v_and_b32_e32 v6, 63, v5
	v_cmp_gt_u32_e64 s[0:1], 48, v6
	v_cndmask_b32_e64 v7, 0, 16, s[0:1]
	v_cmp_gt_u32_e64 s[0:1], 56, v6
	s_waitcnt lgkmcnt(0)
	v_add_f32_e32 v3, v3, v4
	v_add_lshl_u32 v4, v7, v5, 2
	ds_bpermute_b32 v4, v4, v3
	v_cndmask_b32_e64 v7, 0, 8, s[0:1]
	v_add_lshl_u32 v7, v7, v5, 2
	v_cmp_gt_u32_e64 s[0:1], 60, v6
	s_waitcnt lgkmcnt(0)
	v_add_f32_e32 v4, v3, v4
	ds_bpermute_b32 v7, v7, v4
	v_cndmask_b32_e64 v3, 0, 4, s[0:1]
	v_add_lshl_u32 v3, v3, v5, 2
	v_cmp_gt_u32_e64 s[0:1], 62, v6
	s_waitcnt lgkmcnt(0)
	s_barrier
	v_add_f32_e32 v7, v4, v7
	ds_bpermute_b32 v8, v3, v7
	v_cndmask_b32_e64 v4, 0, 2, s[0:1]
	v_add_lshl_u32 v4, v4, v5, 2
	v_cmp_ne_u32_e64 s[0:1], 63, v6
	v_addc_co_u32_e64 v5, s[0:1], 0, v5, s[0:1]
	s_waitcnt lgkmcnt(0)
	v_add_f32_e32 v7, v7, v8
	ds_bpermute_b32 v8, v4, v7
	v_lshlrev_b32_e32 v5, 2, v5
	v_cmp_eq_u32_e64 s[0:1], 0, v2
	s_waitcnt lgkmcnt(0)
	v_add_f32_e32 v6, v7, v8
	ds_bpermute_b32 v7, v5, v6
	s_and_saveexec_b64 s[4:5], s[0:1]
	s_cbranch_execz .LBB1_10
; %bb.9:
	s_waitcnt lgkmcnt(0)
	v_add_f32_e32 v2, v6, v7
	v_lshrrev_b32_e32 v6, 4, v0
	v_and_b32_e32 v6, 28, v6
	ds_write_b32 v6, v2
.LBB1_10:
	s_or_b64 exec, exec, s[4:5]
	v_cmp_gt_u32_e64 s[0:1], 8, v0
	v_mov_b32_e32 v2, 0
	s_waitcnt lgkmcnt(0)
	s_barrier
	s_and_saveexec_b64 s[4:5], s[0:1]
	s_cbranch_execnz .LBB1_14
; %bb.11:
	s_or_b64 exec, exec, s[4:5]
	s_and_saveexec_b64 s[0:1], vcc
	s_cbranch_execnz .LBB1_15
.LBB1_12:
	s_or_b64 exec, exec, s[0:1]
	v_cmp_eq_u32_e32 vcc, 0, v0
	s_and_saveexec_b64 s[0:1], vcc
	s_cbranch_execnz .LBB1_16
.LBB1_13:
	s_endpgm
.LBB1_14:
	ds_read_b32 v2, v1
	s_or_b64 exec, exec, s[4:5]
	s_and_saveexec_b64 s[0:1], vcc
	s_cbranch_execz .LBB1_12
.LBB1_15:
	s_waitcnt lgkmcnt(0)
	ds_bpermute_b32 v1, v3, v2
	s_waitcnt lgkmcnt(0)
	v_add_f32_e32 v1, v2, v1
	ds_bpermute_b32 v2, v4, v1
	s_waitcnt lgkmcnt(0)
	v_add_f32_e32 v1, v1, v2
	;; [unrolled: 3-line block ×3, first 2 shown]
	s_or_b64 exec, exec, s[0:1]
	v_cmp_eq_u32_e32 vcc, 0, v0
	s_and_saveexec_b64 s[0:1], vcc
	s_cbranch_execz .LBB1_13
.LBB1_16:
	s_lshl_b64 s[0:1], s[6:7], 2
	s_add_u32 s0, s2, s0
	s_addc_u32 s1, s3, s1
	v_mov_b32_e32 v0, 0
	s_waitcnt lgkmcnt(0)
	global_store_dword v0, v2, s[0:1]
	s_endpgm
	.section	.rodata,"a",@progbits
	.p2align	6, 0x0
	.amdhsa_kernel _ZL30rocblas_reduction_kernel_part2ILi512ELi4E25rocblas_finalize_identityffEviPT2_PT3_
		.amdhsa_group_segment_fixed_size 256
		.amdhsa_private_segment_fixed_size 0
		.amdhsa_kernarg_size 24
		.amdhsa_user_sgpr_count 6
		.amdhsa_user_sgpr_private_segment_buffer 1
		.amdhsa_user_sgpr_dispatch_ptr 0
		.amdhsa_user_sgpr_queue_ptr 0
		.amdhsa_user_sgpr_kernarg_segment_ptr 1
		.amdhsa_user_sgpr_dispatch_id 0
		.amdhsa_user_sgpr_flat_scratch_init 0
		.amdhsa_user_sgpr_private_segment_size 0
		.amdhsa_uses_dynamic_stack 0
		.amdhsa_system_sgpr_private_segment_wavefront_offset 0
		.amdhsa_system_sgpr_workgroup_id_x 1
		.amdhsa_system_sgpr_workgroup_id_y 0
		.amdhsa_system_sgpr_workgroup_id_z 0
		.amdhsa_system_sgpr_workgroup_info 0
		.amdhsa_system_vgpr_workitem_id 0
		.amdhsa_next_free_vgpr 9
		.amdhsa_next_free_sgpr 14
		.amdhsa_reserve_vcc 1
		.amdhsa_reserve_flat_scratch 0
		.amdhsa_float_round_mode_32 0
		.amdhsa_float_round_mode_16_64 0
		.amdhsa_float_denorm_mode_32 3
		.amdhsa_float_denorm_mode_16_64 3
		.amdhsa_dx10_clamp 1
		.amdhsa_ieee_mode 1
		.amdhsa_fp16_overflow 0
		.amdhsa_exception_fp_ieee_invalid_op 0
		.amdhsa_exception_fp_denorm_src 0
		.amdhsa_exception_fp_ieee_div_zero 0
		.amdhsa_exception_fp_ieee_overflow 0
		.amdhsa_exception_fp_ieee_underflow 0
		.amdhsa_exception_fp_ieee_inexact 0
		.amdhsa_exception_int_div_zero 0
	.end_amdhsa_kernel
	.section	.text._ZL30rocblas_reduction_kernel_part2ILi512ELi4E25rocblas_finalize_identityffEviPT2_PT3_,"axG",@progbits,_ZL30rocblas_reduction_kernel_part2ILi512ELi4E25rocblas_finalize_identityffEviPT2_PT3_,comdat
.Lfunc_end1:
	.size	_ZL30rocblas_reduction_kernel_part2ILi512ELi4E25rocblas_finalize_identityffEviPT2_PT3_, .Lfunc_end1-_ZL30rocblas_reduction_kernel_part2ILi512ELi4E25rocblas_finalize_identityffEviPT2_PT3_
                                        ; -- End function
	.set _ZL30rocblas_reduction_kernel_part2ILi512ELi4E25rocblas_finalize_identityffEviPT2_PT3_.num_vgpr, 9
	.set _ZL30rocblas_reduction_kernel_part2ILi512ELi4E25rocblas_finalize_identityffEviPT2_PT3_.num_agpr, 0
	.set _ZL30rocblas_reduction_kernel_part2ILi512ELi4E25rocblas_finalize_identityffEviPT2_PT3_.numbered_sgpr, 14
	.set _ZL30rocblas_reduction_kernel_part2ILi512ELi4E25rocblas_finalize_identityffEviPT2_PT3_.num_named_barrier, 0
	.set _ZL30rocblas_reduction_kernel_part2ILi512ELi4E25rocblas_finalize_identityffEviPT2_PT3_.private_seg_size, 0
	.set _ZL30rocblas_reduction_kernel_part2ILi512ELi4E25rocblas_finalize_identityffEviPT2_PT3_.uses_vcc, 1
	.set _ZL30rocblas_reduction_kernel_part2ILi512ELi4E25rocblas_finalize_identityffEviPT2_PT3_.uses_flat_scratch, 0
	.set _ZL30rocblas_reduction_kernel_part2ILi512ELi4E25rocblas_finalize_identityffEviPT2_PT3_.has_dyn_sized_stack, 0
	.set _ZL30rocblas_reduction_kernel_part2ILi512ELi4E25rocblas_finalize_identityffEviPT2_PT3_.has_recursion, 0
	.set _ZL30rocblas_reduction_kernel_part2ILi512ELi4E25rocblas_finalize_identityffEviPT2_PT3_.has_indirect_call, 0
	.section	.AMDGPU.csdata,"",@progbits
; Kernel info:
; codeLenInByte = 772
; TotalNumSgprs: 18
; NumVgprs: 9
; ScratchSize: 0
; MemoryBound: 0
; FloatMode: 240
; IeeeMode: 1
; LDSByteSize: 256 bytes/workgroup (compile time only)
; SGPRBlocks: 2
; VGPRBlocks: 2
; NumSGPRsForWavesPerEU: 18
; NumVGPRsForWavesPerEU: 9
; Occupancy: 10
; WaveLimiterHint : 0
; COMPUTE_PGM_RSRC2:SCRATCH_EN: 0
; COMPUTE_PGM_RSRC2:USER_SGPR: 6
; COMPUTE_PGM_RSRC2:TRAP_HANDLER: 0
; COMPUTE_PGM_RSRC2:TGID_X_EN: 1
; COMPUTE_PGM_RSRC2:TGID_Y_EN: 0
; COMPUTE_PGM_RSRC2:TGID_Z_EN: 0
; COMPUTE_PGM_RSRC2:TIDIG_COMP_CNT: 0
	.section	.text._ZL30rocblas_reduction_kernel_part1IiLi512ELi4E18rocblas_fetch_asumIfEPKPKffEviiT3_lT_liPT4_,"axG",@progbits,_ZL30rocblas_reduction_kernel_part1IiLi512ELi4E18rocblas_fetch_asumIfEPKPKffEviiT3_lT_liPT4_,comdat
	.globl	_ZL30rocblas_reduction_kernel_part1IiLi512ELi4E18rocblas_fetch_asumIfEPKPKffEviiT3_lT_liPT4_ ; -- Begin function _ZL30rocblas_reduction_kernel_part1IiLi512ELi4E18rocblas_fetch_asumIfEPKPKffEviiT3_lT_liPT4_
	.p2align	8
	.type	_ZL30rocblas_reduction_kernel_part1IiLi512ELi4E18rocblas_fetch_asumIfEPKPKffEviiT3_lT_liPT4_,@function
_ZL30rocblas_reduction_kernel_part1IiLi512ELi4E18rocblas_fetch_asumIfEPKPKffEviiT3_lT_liPT4_: ; @_ZL30rocblas_reduction_kernel_part1IiLi512ELi4E18rocblas_fetch_asumIfEPKPKffEviiT3_lT_liPT4_
; %bb.0:
	s_load_dwordx2 s[8:9], s[4:5], 0x0
	v_lshl_or_b32 v1, s6, 9, v0
	v_mov_b32_e32 v2, 0
	s_mov_b32 s2, s7
	s_waitcnt lgkmcnt(0)
	s_ashr_i32 s13, s8, 31
	s_mov_b32 s12, s8
	v_cmp_gt_i64_e32 vcc, s[12:13], v[1:2]
	s_and_saveexec_b64 s[10:11], vcc
	s_cbranch_execz .LBB2_4
; %bb.1:
	s_load_dword s8, s[4:5], 0x18
	s_load_dwordx4 s[16:19], s[4:5], 0x8
	s_mov_b32 s3, 0
	s_lshl_b64 s[0:1], s[2:3], 3
	s_load_dword s7, s[4:5], 0x38
	s_waitcnt lgkmcnt(0)
	v_mad_u64_u32 v[5:6], s[14:15], s8, v1, 0
	s_ashr_i32 s20, s8, 31
	s_add_u32 s0, s16, s0
	s_addc_u32 s1, s17, s1
	v_mov_b32_e32 v2, v6
	s_load_dwordx2 s[0:1], s[0:1], 0x0
	v_mad_u64_u32 v[2:3], s[14:15], s20, v1, v[2:3]
	s_lshl_b32 s7, s7, 9
	s_ashr_i32 s21, s7, 31
	v_mov_b32_e32 v6, v2
	s_lshl_b64 s[14:15], s[18:19], 2
	v_mov_b32_e32 v4, s21
	v_add_co_u32_e32 v3, vcc, s7, v1
	v_lshlrev_b64 v[1:2], 2, v[5:6]
	s_waitcnt lgkmcnt(0)
	s_add_u32 s0, s0, s14
	v_addc_co_u32_e32 v4, vcc, 0, v4, vcc
	s_addc_u32 s1, s1, s15
	v_mov_b32_e32 v6, s1
	v_add_co_u32_e32 v5, vcc, s0, v1
	s_mul_hi_i32 s1, s8, s7
	s_mul_i32 s0, s8, s7
	s_lshl_b64 s[14:15], s[0:1], 2
	v_addc_co_u32_e32 v6, vcc, v6, v2, vcc
	v_mov_b32_e32 v2, 0
	s_mov_b64 s[16:17], 0
	v_mov_b32_e32 v1, s21
	v_mov_b32_e32 v7, s15
.LBB2_2:                                ; =>This Inner Loop Header: Depth=1
	flat_load_dword v8, v[5:6]
	v_cmp_le_i64_e32 vcc, s[12:13], v[3:4]
	v_add_co_u32_e64 v3, s[0:1], s7, v3
	v_addc_co_u32_e64 v4, s[0:1], v4, v1, s[0:1]
	s_add_i32 s8, s3, 1
	v_add_co_u32_e64 v5, s[0:1], s14, v5
	v_addc_co_u32_e64 v6, s[0:1], v6, v7, s[0:1]
	s_cmp_gt_u32 s3, 2
	s_cselect_b64 s[0:1], -1, 0
	s_or_b64 s[0:1], s[0:1], vcc
	s_and_b64 s[0:1], exec, s[0:1]
	s_mov_b32 s3, s8
	s_or_b64 s[16:17], s[0:1], s[16:17]
	s_waitcnt vmcnt(0) lgkmcnt(0)
	v_cmp_gt_f32_e32 vcc, 0, v8
	v_cndmask_b32_e64 v8, v8, -v8, vcc
	v_add_f32_e32 v2, v2, v8
	s_andn2_b64 exec, exec, s[16:17]
	s_cbranch_execnz .LBB2_2
; %bb.3:
	s_or_b64 exec, exec, s[16:17]
.LBB2_4:
	s_or_b64 exec, exec, s[10:11]
	v_and_b32_e32 v3, 63, v0
	v_cmp_gt_u32_e32 vcc, 64, v0
	v_lshlrev_b32_e32 v1, 2, v3
	s_and_saveexec_b64 s[0:1], vcc
; %bb.5:
	v_mov_b32_e32 v4, 0
	ds_write_b32 v1, v4
; %bb.6:
	s_or_b64 exec, exec, s[0:1]
	v_mbcnt_lo_u32_b32 v4, -1, 0
	v_mbcnt_hi_u32_b32 v5, -1, v4
	v_mov_b32_e32 v4, 0x80
	v_lshl_or_b32 v4, v5, 2, v4
	ds_bpermute_b32 v4, v4, v2
	v_and_b32_e32 v6, 63, v5
	v_cmp_gt_u32_e64 s[0:1], 48, v6
	v_cndmask_b32_e64 v7, 0, 16, s[0:1]
	v_cmp_gt_u32_e64 s[0:1], 56, v6
	s_waitcnt lgkmcnt(0)
	v_add_f32_e32 v2, v2, v4
	v_add_lshl_u32 v4, v7, v5, 2
	ds_bpermute_b32 v4, v4, v2
	v_cndmask_b32_e64 v7, 0, 8, s[0:1]
	v_add_lshl_u32 v7, v7, v5, 2
	v_cmp_gt_u32_e64 s[0:1], 60, v6
	s_waitcnt lgkmcnt(0)
	v_add_f32_e32 v4, v2, v4
	ds_bpermute_b32 v7, v7, v4
	v_cndmask_b32_e64 v2, 0, 4, s[0:1]
	v_add_lshl_u32 v2, v2, v5, 2
	v_cmp_gt_u32_e64 s[0:1], 62, v6
	s_waitcnt lgkmcnt(0)
	s_barrier
	v_add_f32_e32 v7, v4, v7
	ds_bpermute_b32 v8, v2, v7
	v_cndmask_b32_e64 v4, 0, 2, s[0:1]
	v_add_lshl_u32 v4, v4, v5, 2
	v_cmp_ne_u32_e64 s[0:1], 63, v6
	v_addc_co_u32_e64 v5, s[0:1], 0, v5, s[0:1]
	s_waitcnt lgkmcnt(0)
	v_add_f32_e32 v7, v7, v8
	ds_bpermute_b32 v8, v4, v7
	v_lshlrev_b32_e32 v5, 2, v5
	v_cmp_eq_u32_e64 s[0:1], 0, v3
	s_waitcnt lgkmcnt(0)
	v_add_f32_e32 v6, v7, v8
	ds_bpermute_b32 v7, v5, v6
	s_and_saveexec_b64 s[10:11], s[0:1]
	s_cbranch_execz .LBB2_8
; %bb.7:
	s_waitcnt lgkmcnt(0)
	v_add_f32_e32 v3, v6, v7
	v_lshrrev_b32_e32 v6, 4, v0
	v_and_b32_e32 v6, 28, v6
	ds_write_b32 v6, v3
.LBB2_8:
	s_or_b64 exec, exec, s[10:11]
	v_cmp_gt_u32_e64 s[0:1], 8, v0
	v_mov_b32_e32 v3, 0
	s_waitcnt lgkmcnt(0)
	s_barrier
	s_and_saveexec_b64 s[10:11], s[0:1]
; %bb.9:
	ds_read_b32 v3, v1
; %bb.10:
	s_or_b64 exec, exec, s[10:11]
	s_and_saveexec_b64 s[0:1], vcc
	s_cbranch_execz .LBB2_12
; %bb.11:
	s_waitcnt lgkmcnt(0)
	ds_bpermute_b32 v1, v2, v3
	s_waitcnt lgkmcnt(0)
	v_add_f32_e32 v1, v3, v1
	ds_bpermute_b32 v2, v4, v1
	s_waitcnt lgkmcnt(0)
	v_add_f32_e32 v1, v1, v2
	;; [unrolled: 3-line block ×3, first 2 shown]
.LBB2_12:
	s_or_b64 exec, exec, s[0:1]
	s_mov_b32 s1, 0
	v_cmp_eq_u32_e32 vcc, 0, v0
	s_and_saveexec_b64 s[10:11], vcc
	s_cbranch_execz .LBB2_14
; %bb.13:
	s_load_dwordx2 s[4:5], s[4:5], 0x30
	s_mul_i32 s0, s9, s2
	s_add_i32 s0, s0, s6
	s_lshl_b64 s[0:1], s[0:1], 2
	v_mov_b32_e32 v0, 0
	s_waitcnt lgkmcnt(0)
	s_add_u32 s0, s4, s0
	s_addc_u32 s1, s5, s1
	global_store_dword v0, v3, s[0:1]
.LBB2_14:
	s_endpgm
	.section	.rodata,"a",@progbits
	.p2align	6, 0x0
	.amdhsa_kernel _ZL30rocblas_reduction_kernel_part1IiLi512ELi4E18rocblas_fetch_asumIfEPKPKffEviiT3_lT_liPT4_
		.amdhsa_group_segment_fixed_size 256
		.amdhsa_private_segment_fixed_size 0
		.amdhsa_kernarg_size 312
		.amdhsa_user_sgpr_count 6
		.amdhsa_user_sgpr_private_segment_buffer 1
		.amdhsa_user_sgpr_dispatch_ptr 0
		.amdhsa_user_sgpr_queue_ptr 0
		.amdhsa_user_sgpr_kernarg_segment_ptr 1
		.amdhsa_user_sgpr_dispatch_id 0
		.amdhsa_user_sgpr_flat_scratch_init 0
		.amdhsa_user_sgpr_private_segment_size 0
		.amdhsa_uses_dynamic_stack 0
		.amdhsa_system_sgpr_private_segment_wavefront_offset 0
		.amdhsa_system_sgpr_workgroup_id_x 1
		.amdhsa_system_sgpr_workgroup_id_y 0
		.amdhsa_system_sgpr_workgroup_id_z 1
		.amdhsa_system_sgpr_workgroup_info 0
		.amdhsa_system_vgpr_workitem_id 0
		.amdhsa_next_free_vgpr 9
		.amdhsa_next_free_sgpr 22
		.amdhsa_reserve_vcc 1
		.amdhsa_reserve_flat_scratch 0
		.amdhsa_float_round_mode_32 0
		.amdhsa_float_round_mode_16_64 0
		.amdhsa_float_denorm_mode_32 3
		.amdhsa_float_denorm_mode_16_64 3
		.amdhsa_dx10_clamp 1
		.amdhsa_ieee_mode 1
		.amdhsa_fp16_overflow 0
		.amdhsa_exception_fp_ieee_invalid_op 0
		.amdhsa_exception_fp_denorm_src 0
		.amdhsa_exception_fp_ieee_div_zero 0
		.amdhsa_exception_fp_ieee_overflow 0
		.amdhsa_exception_fp_ieee_underflow 0
		.amdhsa_exception_fp_ieee_inexact 0
		.amdhsa_exception_int_div_zero 0
	.end_amdhsa_kernel
	.section	.text._ZL30rocblas_reduction_kernel_part1IiLi512ELi4E18rocblas_fetch_asumIfEPKPKffEviiT3_lT_liPT4_,"axG",@progbits,_ZL30rocblas_reduction_kernel_part1IiLi512ELi4E18rocblas_fetch_asumIfEPKPKffEviiT3_lT_liPT4_,comdat
.Lfunc_end2:
	.size	_ZL30rocblas_reduction_kernel_part1IiLi512ELi4E18rocblas_fetch_asumIfEPKPKffEviiT3_lT_liPT4_, .Lfunc_end2-_ZL30rocblas_reduction_kernel_part1IiLi512ELi4E18rocblas_fetch_asumIfEPKPKffEviiT3_lT_liPT4_
                                        ; -- End function
	.set _ZL30rocblas_reduction_kernel_part1IiLi512ELi4E18rocblas_fetch_asumIfEPKPKffEviiT3_lT_liPT4_.num_vgpr, 9
	.set _ZL30rocblas_reduction_kernel_part1IiLi512ELi4E18rocblas_fetch_asumIfEPKPKffEviiT3_lT_liPT4_.num_agpr, 0
	.set _ZL30rocblas_reduction_kernel_part1IiLi512ELi4E18rocblas_fetch_asumIfEPKPKffEviiT3_lT_liPT4_.numbered_sgpr, 22
	.set _ZL30rocblas_reduction_kernel_part1IiLi512ELi4E18rocblas_fetch_asumIfEPKPKffEviiT3_lT_liPT4_.num_named_barrier, 0
	.set _ZL30rocblas_reduction_kernel_part1IiLi512ELi4E18rocblas_fetch_asumIfEPKPKffEviiT3_lT_liPT4_.private_seg_size, 0
	.set _ZL30rocblas_reduction_kernel_part1IiLi512ELi4E18rocblas_fetch_asumIfEPKPKffEviiT3_lT_liPT4_.uses_vcc, 1
	.set _ZL30rocblas_reduction_kernel_part1IiLi512ELi4E18rocblas_fetch_asumIfEPKPKffEviiT3_lT_liPT4_.uses_flat_scratch, 0
	.set _ZL30rocblas_reduction_kernel_part1IiLi512ELi4E18rocblas_fetch_asumIfEPKPKffEviiT3_lT_liPT4_.has_dyn_sized_stack, 0
	.set _ZL30rocblas_reduction_kernel_part1IiLi512ELi4E18rocblas_fetch_asumIfEPKPKffEviiT3_lT_liPT4_.has_recursion, 0
	.set _ZL30rocblas_reduction_kernel_part1IiLi512ELi4E18rocblas_fetch_asumIfEPKPKffEviiT3_lT_liPT4_.has_indirect_call, 0
	.section	.AMDGPU.csdata,"",@progbits
; Kernel info:
; codeLenInByte = 804
; TotalNumSgprs: 26
; NumVgprs: 9
; ScratchSize: 0
; MemoryBound: 0
; FloatMode: 240
; IeeeMode: 1
; LDSByteSize: 256 bytes/workgroup (compile time only)
; SGPRBlocks: 3
; VGPRBlocks: 2
; NumSGPRsForWavesPerEU: 26
; NumVGPRsForWavesPerEU: 9
; Occupancy: 10
; WaveLimiterHint : 0
; COMPUTE_PGM_RSRC2:SCRATCH_EN: 0
; COMPUTE_PGM_RSRC2:USER_SGPR: 6
; COMPUTE_PGM_RSRC2:TRAP_HANDLER: 0
; COMPUTE_PGM_RSRC2:TGID_X_EN: 1
; COMPUTE_PGM_RSRC2:TGID_Y_EN: 0
; COMPUTE_PGM_RSRC2:TGID_Z_EN: 1
; COMPUTE_PGM_RSRC2:TIDIG_COMP_CNT: 0
	.section	.text._ZL30rocblas_reduction_kernel_part1IiLi512ELi2E18rocblas_fetch_asumIdEPKddEviiT3_lT_liPT4_,"axG",@progbits,_ZL30rocblas_reduction_kernel_part1IiLi512ELi2E18rocblas_fetch_asumIdEPKddEviiT3_lT_liPT4_,comdat
	.globl	_ZL30rocblas_reduction_kernel_part1IiLi512ELi2E18rocblas_fetch_asumIdEPKddEviiT3_lT_liPT4_ ; -- Begin function _ZL30rocblas_reduction_kernel_part1IiLi512ELi2E18rocblas_fetch_asumIdEPKddEviiT3_lT_liPT4_
	.p2align	8
	.type	_ZL30rocblas_reduction_kernel_part1IiLi512ELi2E18rocblas_fetch_asumIdEPKddEviiT3_lT_liPT4_,@function
_ZL30rocblas_reduction_kernel_part1IiLi512ELi2E18rocblas_fetch_asumIdEPKddEviiT3_lT_liPT4_: ; @_ZL30rocblas_reduction_kernel_part1IiLi512ELi2E18rocblas_fetch_asumIdEPKddEviiT3_lT_liPT4_
; %bb.0:
	s_load_dwordx2 s[2:3], s[4:5], 0x0
	v_lshl_or_b32 v3, s6, 9, v0
	v_mov_b32_e32 v4, 0
	v_mov_b32_e32 v1, 0
	;; [unrolled: 1-line block ×3, first 2 shown]
	s_waitcnt lgkmcnt(0)
	s_ashr_i32 s9, s2, 31
	s_mov_b32 s8, s2
	v_cmp_gt_i64_e32 vcc, s[8:9], v[3:4]
	s_and_saveexec_b64 s[0:1], vcc
	s_cbranch_execz .LBB3_4
; %bb.1:
	s_load_dword s2, s[4:5], 0x18
	s_load_dwordx2 s[16:17], s[4:5], 0x20
	s_load_dwordx4 s[12:15], s[4:5], 0x8
	s_load_dword s20, s[4:5], 0x38
	s_waitcnt lgkmcnt(0)
	v_mad_u64_u32 v[1:2], s[18:19], v3, s2, 0
	s_mul_i32 s11, s17, s7
	s_mul_hi_u32 s17, s16, s7
	s_add_i32 s17, s17, s11
	s_mul_i32 s16, s16, s7
	s_ashr_i32 s10, s2, 31
	s_lshl_b64 s[16:17], s[16:17], 3
	s_add_u32 s11, s12, s16
	s_addc_u32 s16, s13, s17
	v_mad_u64_u32 v[4:5], s[12:13], v3, s10, v[2:3]
	s_lshl_b64 s[12:13], s[14:15], 3
	s_add_u32 s11, s11, s12
	v_mov_b32_e32 v2, v4
	v_lshlrev_b64 v[1:2], 3, v[1:2]
	s_addc_u32 s12, s16, s13
	v_mov_b32_e32 v4, s12
	v_add_co_u32_e32 v1, vcc, s11, v1
	v_addc_co_u32_e32 v2, vcc, v4, v2, vcc
	global_load_dwordx2 v[1:2], v[1:2], off
	s_lshl_b32 s13, s20, 9
	s_ashr_i32 s14, s13, 31
	s_waitcnt vmcnt(0)
	v_cmp_gt_f64_e32 vcc, 0, v[1:2]
	v_xor_b32_e32 v4, 0x80000000, v2
	v_cndmask_b32_e32 v2, v2, v4, vcc
	v_add_f64 v[1:2], v[1:2], 0
	v_mov_b32_e32 v4, s14
	v_add_co_u32_e32 v3, vcc, s13, v3
	v_addc_co_u32_e32 v4, vcc, 0, v4, vcc
	v_cmp_gt_i64_e32 vcc, s[8:9], v[3:4]
	s_and_saveexec_b64 s[8:9], vcc
	s_cbranch_execz .LBB3_3
; %bb.2:
	v_mul_lo_u32 v5, v4, s2
	v_mul_lo_u32 v6, v3, s10
	v_mad_u64_u32 v[3:4], s[14:15], v3, s2, 0
	v_add3_u32 v4, v4, v6, v5
	v_lshlrev_b64 v[3:4], 3, v[3:4]
	v_mov_b32_e32 v5, s12
	v_add_co_u32_e32 v3, vcc, s11, v3
	v_addc_co_u32_e32 v4, vcc, v5, v4, vcc
	global_load_dwordx2 v[3:4], v[3:4], off
	s_waitcnt vmcnt(0)
	v_cmp_gt_f64_e32 vcc, 0, v[3:4]
	v_xor_b32_e32 v5, 0x80000000, v4
	v_cndmask_b32_e32 v4, v4, v5, vcc
	v_add_f64 v[1:2], v[1:2], v[3:4]
.LBB3_3:
	s_or_b64 exec, exec, s[8:9]
.LBB3_4:
	s_or_b64 exec, exec, s[0:1]
	v_and_b32_e32 v6, 63, v0
	v_cmp_gt_u32_e32 vcc, 64, v0
	v_lshlrev_b32_e32 v5, 3, v6
	s_and_saveexec_b64 s[0:1], vcc
; %bb.5:
	v_mov_b32_e32 v3, 0
	v_mov_b32_e32 v4, v3
	ds_write_b64 v5, v[3:4]
; %bb.6:
	s_or_b64 exec, exec, s[0:1]
	v_mbcnt_lo_u32_b32 v3, -1, 0
	v_mbcnt_hi_u32_b32 v9, -1, v3
	v_mov_b32_e32 v3, 0x80
	v_lshl_or_b32 v4, v9, 2, v3
	ds_bpermute_b32 v3, v4, v1
	ds_bpermute_b32 v4, v4, v2
	v_and_b32_e32 v10, 63, v9
	v_cmp_gt_u32_e64 s[0:1], 48, v10
	s_waitcnt lgkmcnt(0)
	s_barrier
	v_add_f64 v[1:2], v[1:2], v[3:4]
	v_cndmask_b32_e64 v3, 0, 16, s[0:1]
	v_add_lshl_u32 v4, v3, v9, 2
	v_cmp_gt_u32_e64 s[0:1], 56, v10
	ds_bpermute_b32 v3, v4, v1
	ds_bpermute_b32 v4, v4, v2
	s_waitcnt lgkmcnt(0)
	v_add_f64 v[1:2], v[1:2], v[3:4]
	v_cndmask_b32_e64 v3, 0, 8, s[0:1]
	v_add_lshl_u32 v4, v3, v9, 2
	v_cmp_gt_u32_e64 s[0:1], 60, v10
	ds_bpermute_b32 v3, v4, v1
	ds_bpermute_b32 v4, v4, v2
	s_waitcnt lgkmcnt(0)
	;; [unrolled: 7-line block ×3, first 2 shown]
	v_add_f64 v[1:2], v[1:2], v[3:4]
	v_cndmask_b32_e64 v3, 0, 2, s[0:1]
	v_add_lshl_u32 v8, v3, v9, 2
	v_cmp_ne_u32_e64 s[0:1], 63, v10
	ds_bpermute_b32 v3, v8, v1
	ds_bpermute_b32 v4, v8, v2
	s_waitcnt lgkmcnt(0)
	v_add_f64 v[1:2], v[1:2], v[3:4]
	v_addc_co_u32_e64 v3, s[0:1], 0, v9, s[0:1]
	v_lshlrev_b32_e32 v9, 2, v3
	v_cmp_eq_u32_e64 s[0:1], 0, v6
	ds_bpermute_b32 v3, v9, v1
	ds_bpermute_b32 v4, v9, v2
	s_and_saveexec_b64 s[8:9], s[0:1]
	s_cbranch_execz .LBB3_8
; %bb.7:
	s_waitcnt lgkmcnt(0)
	v_add_f64 v[1:2], v[1:2], v[3:4]
	v_lshrrev_b32_e32 v3, 3, v0
	v_and_b32_e32 v3, 56, v3
	ds_write_b64 v3, v[1:2]
.LBB3_8:
	s_or_b64 exec, exec, s[8:9]
	v_mov_b32_e32 v1, 0
	v_mov_b32_e32 v2, 0
	v_cmp_gt_u32_e64 s[0:1], 8, v0
	s_waitcnt lgkmcnt(0)
	s_barrier
	s_and_saveexec_b64 s[8:9], s[0:1]
; %bb.9:
	ds_read_b64 v[1:2], v5
; %bb.10:
	s_or_b64 exec, exec, s[8:9]
	s_and_saveexec_b64 s[0:1], vcc
	s_cbranch_execz .LBB3_12
; %bb.11:
	s_waitcnt lgkmcnt(0)
	ds_bpermute_b32 v3, v7, v1
	ds_bpermute_b32 v4, v7, v2
	s_waitcnt lgkmcnt(0)
	v_add_f64 v[1:2], v[1:2], v[3:4]
	ds_bpermute_b32 v3, v8, v1
	ds_bpermute_b32 v4, v8, v2
	s_waitcnt lgkmcnt(0)
	v_add_f64 v[1:2], v[1:2], v[3:4]
	;; [unrolled: 4-line block ×3, first 2 shown]
.LBB3_12:
	s_or_b64 exec, exec, s[0:1]
	s_mov_b32 s1, 0
	v_cmp_eq_u32_e32 vcc, 0, v0
	s_and_saveexec_b64 s[8:9], vcc
	s_cbranch_execz .LBB3_14
; %bb.13:
	s_load_dwordx2 s[4:5], s[4:5], 0x30
	s_mul_i32 s0, s3, s7
	s_add_i32 s0, s0, s6
	s_lshl_b64 s[0:1], s[0:1], 3
	v_mov_b32_e32 v0, 0
	s_waitcnt lgkmcnt(0)
	s_add_u32 s0, s4, s0
	s_addc_u32 s1, s5, s1
	global_store_dwordx2 v0, v[1:2], s[0:1]
.LBB3_14:
	s_endpgm
	.section	.rodata,"a",@progbits
	.p2align	6, 0x0
	.amdhsa_kernel _ZL30rocblas_reduction_kernel_part1IiLi512ELi2E18rocblas_fetch_asumIdEPKddEviiT3_lT_liPT4_
		.amdhsa_group_segment_fixed_size 512
		.amdhsa_private_segment_fixed_size 0
		.amdhsa_kernarg_size 312
		.amdhsa_user_sgpr_count 6
		.amdhsa_user_sgpr_private_segment_buffer 1
		.amdhsa_user_sgpr_dispatch_ptr 0
		.amdhsa_user_sgpr_queue_ptr 0
		.amdhsa_user_sgpr_kernarg_segment_ptr 1
		.amdhsa_user_sgpr_dispatch_id 0
		.amdhsa_user_sgpr_flat_scratch_init 0
		.amdhsa_user_sgpr_private_segment_size 0
		.amdhsa_uses_dynamic_stack 0
		.amdhsa_system_sgpr_private_segment_wavefront_offset 0
		.amdhsa_system_sgpr_workgroup_id_x 1
		.amdhsa_system_sgpr_workgroup_id_y 0
		.amdhsa_system_sgpr_workgroup_id_z 1
		.amdhsa_system_sgpr_workgroup_info 0
		.amdhsa_system_vgpr_workitem_id 0
		.amdhsa_next_free_vgpr 11
		.amdhsa_next_free_sgpr 21
		.amdhsa_reserve_vcc 1
		.amdhsa_reserve_flat_scratch 0
		.amdhsa_float_round_mode_32 0
		.amdhsa_float_round_mode_16_64 0
		.amdhsa_float_denorm_mode_32 3
		.amdhsa_float_denorm_mode_16_64 3
		.amdhsa_dx10_clamp 1
		.amdhsa_ieee_mode 1
		.amdhsa_fp16_overflow 0
		.amdhsa_exception_fp_ieee_invalid_op 0
		.amdhsa_exception_fp_denorm_src 0
		.amdhsa_exception_fp_ieee_div_zero 0
		.amdhsa_exception_fp_ieee_overflow 0
		.amdhsa_exception_fp_ieee_underflow 0
		.amdhsa_exception_fp_ieee_inexact 0
		.amdhsa_exception_int_div_zero 0
	.end_amdhsa_kernel
	.section	.text._ZL30rocblas_reduction_kernel_part1IiLi512ELi2E18rocblas_fetch_asumIdEPKddEviiT3_lT_liPT4_,"axG",@progbits,_ZL30rocblas_reduction_kernel_part1IiLi512ELi2E18rocblas_fetch_asumIdEPKddEviiT3_lT_liPT4_,comdat
.Lfunc_end3:
	.size	_ZL30rocblas_reduction_kernel_part1IiLi512ELi2E18rocblas_fetch_asumIdEPKddEviiT3_lT_liPT4_, .Lfunc_end3-_ZL30rocblas_reduction_kernel_part1IiLi512ELi2E18rocblas_fetch_asumIdEPKddEviiT3_lT_liPT4_
                                        ; -- End function
	.set _ZL30rocblas_reduction_kernel_part1IiLi512ELi2E18rocblas_fetch_asumIdEPKddEviiT3_lT_liPT4_.num_vgpr, 11
	.set _ZL30rocblas_reduction_kernel_part1IiLi512ELi2E18rocblas_fetch_asumIdEPKddEviiT3_lT_liPT4_.num_agpr, 0
	.set _ZL30rocblas_reduction_kernel_part1IiLi512ELi2E18rocblas_fetch_asumIdEPKddEviiT3_lT_liPT4_.numbered_sgpr, 21
	.set _ZL30rocblas_reduction_kernel_part1IiLi512ELi2E18rocblas_fetch_asumIdEPKddEviiT3_lT_liPT4_.num_named_barrier, 0
	.set _ZL30rocblas_reduction_kernel_part1IiLi512ELi2E18rocblas_fetch_asumIdEPKddEviiT3_lT_liPT4_.private_seg_size, 0
	.set _ZL30rocblas_reduction_kernel_part1IiLi512ELi2E18rocblas_fetch_asumIdEPKddEviiT3_lT_liPT4_.uses_vcc, 1
	.set _ZL30rocblas_reduction_kernel_part1IiLi512ELi2E18rocblas_fetch_asumIdEPKddEviiT3_lT_liPT4_.uses_flat_scratch, 0
	.set _ZL30rocblas_reduction_kernel_part1IiLi512ELi2E18rocblas_fetch_asumIdEPKddEviiT3_lT_liPT4_.has_dyn_sized_stack, 0
	.set _ZL30rocblas_reduction_kernel_part1IiLi512ELi2E18rocblas_fetch_asumIdEPKddEviiT3_lT_liPT4_.has_recursion, 0
	.set _ZL30rocblas_reduction_kernel_part1IiLi512ELi2E18rocblas_fetch_asumIdEPKddEviiT3_lT_liPT4_.has_indirect_call, 0
	.section	.AMDGPU.csdata,"",@progbits
; Kernel info:
; codeLenInByte = 936
; TotalNumSgprs: 25
; NumVgprs: 11
; ScratchSize: 0
; MemoryBound: 0
; FloatMode: 240
; IeeeMode: 1
; LDSByteSize: 512 bytes/workgroup (compile time only)
; SGPRBlocks: 3
; VGPRBlocks: 2
; NumSGPRsForWavesPerEU: 25
; NumVGPRsForWavesPerEU: 11
; Occupancy: 10
; WaveLimiterHint : 0
; COMPUTE_PGM_RSRC2:SCRATCH_EN: 0
; COMPUTE_PGM_RSRC2:USER_SGPR: 6
; COMPUTE_PGM_RSRC2:TRAP_HANDLER: 0
; COMPUTE_PGM_RSRC2:TGID_X_EN: 1
; COMPUTE_PGM_RSRC2:TGID_Y_EN: 0
; COMPUTE_PGM_RSRC2:TGID_Z_EN: 1
; COMPUTE_PGM_RSRC2:TIDIG_COMP_CNT: 0
	.section	.text._ZL30rocblas_reduction_kernel_part2ILi512ELi2E25rocblas_finalize_identityddEviPT2_PT3_,"axG",@progbits,_ZL30rocblas_reduction_kernel_part2ILi512ELi2E25rocblas_finalize_identityddEviPT2_PT3_,comdat
	.globl	_ZL30rocblas_reduction_kernel_part2ILi512ELi2E25rocblas_finalize_identityddEviPT2_PT3_ ; -- Begin function _ZL30rocblas_reduction_kernel_part2ILi512ELi2E25rocblas_finalize_identityddEviPT2_PT3_
	.p2align	8
	.type	_ZL30rocblas_reduction_kernel_part2ILi512ELi2E25rocblas_finalize_identityddEviPT2_PT3_,@function
_ZL30rocblas_reduction_kernel_part2ILi512ELi2E25rocblas_finalize_identityddEviPT2_PT3_: ; @_ZL30rocblas_reduction_kernel_part2ILi512ELi2E25rocblas_finalize_identityddEviPT2_PT3_
; %bb.0:
	s_load_dword s14, s[4:5], 0x0
	s_load_dwordx4 s[8:11], s[4:5], 0x8
	v_lshlrev_b32_e32 v5, 1, v0
	v_mov_b32_e32 v1, 0
	s_mov_b32 s7, 0
	s_waitcnt lgkmcnt(0)
	s_ashr_i32 s0, s14, 31
	s_mul_hi_u32 s1, s14, s6
	s_mul_i32 s0, s0, s6
	s_add_i32 s3, s1, s0
	s_lshr_b32 s0, s14, 31
	s_add_i32 s0, s14, s0
	s_and_b32 s15, s0, -2
	s_mul_i32 s2, s14, s6
	v_mov_b32_e32 v2, 0
	v_cmp_gt_i32_e32 vcc, s15, v5
	s_and_saveexec_b64 s[4:5], vcc
	s_cbranch_execz .LBB4_4
; %bb.1:
	s_lshl_b64 s[0:1], s[2:3], 3
	s_add_u32 s0, s8, s0
	v_lshlrev_b32_e32 v1, 4, v0
	s_addc_u32 s1, s9, s1
	v_mov_b32_e32 v2, s1
	v_add_co_u32_e32 v1, vcc, s0, v1
	v_addc_co_u32_e32 v2, vcc, 0, v2, vcc
	v_add_co_u32_e32 v3, vcc, 8, v1
	v_addc_co_u32_e32 v4, vcc, 0, v2, vcc
	v_mov_b32_e32 v1, 0
	v_mov_b32_e32 v2, 0
	s_mov_b64 s[12:13], 0
.LBB4_2:                                ; =>This Inner Loop Header: Depth=1
	global_load_dwordx4 v[6:9], v[3:4], off offset:-8
	v_add_u32_e32 v5, 0x400, v5
	v_add_co_u32_e32 v3, vcc, 0x2000, v3
	v_cmp_le_i32_e64 s[0:1], s15, v5
	s_or_b64 s[12:13], s[0:1], s[12:13]
	v_addc_co_u32_e32 v4, vcc, 0, v4, vcc
	s_waitcnt vmcnt(0)
	v_add_f64 v[1:2], v[1:2], v[6:7]
	v_add_f64 v[1:2], v[1:2], v[8:9]
	s_andn2_b64 exec, exec, s[12:13]
	s_cbranch_execnz .LBB4_2
; %bb.3:
	s_or_b64 exec, exec, s[12:13]
.LBB4_4:
	s_or_b64 exec, exec, s[4:5]
	s_sub_i32 s0, s14, s15
	v_cmp_gt_u32_e32 vcc, s0, v0
	s_and_saveexec_b64 s[0:1], vcc
	s_cbranch_execz .LBB4_6
; %bb.5:
	s_lshl_b64 s[2:3], s[2:3], 3
	v_xad_u32 v3, v0, -1, s14
	v_mov_b32_e32 v4, 0
	s_add_u32 s2, s8, s2
	v_lshlrev_b64 v[3:4], 3, v[3:4]
	s_addc_u32 s3, s9, s3
	v_mov_b32_e32 v5, s3
	v_add_co_u32_e32 v3, vcc, s2, v3
	v_addc_co_u32_e32 v4, vcc, v5, v4, vcc
	global_load_dwordx2 v[3:4], v[3:4], off
	s_waitcnt vmcnt(0)
	v_add_f64 v[1:2], v[1:2], v[3:4]
.LBB4_6:
	s_or_b64 exec, exec, s[0:1]
	v_and_b32_e32 v6, 63, v0
	v_cmp_gt_u32_e32 vcc, 64, v0
	v_lshlrev_b32_e32 v5, 3, v6
	s_and_saveexec_b64 s[0:1], vcc
; %bb.7:
	v_mov_b32_e32 v3, 0
	v_mov_b32_e32 v4, v3
	ds_write_b64 v5, v[3:4]
; %bb.8:
	s_or_b64 exec, exec, s[0:1]
	v_mbcnt_lo_u32_b32 v3, -1, 0
	v_mbcnt_hi_u32_b32 v9, -1, v3
	v_mov_b32_e32 v3, 0x80
	v_lshl_or_b32 v4, v9, 2, v3
	ds_bpermute_b32 v3, v4, v1
	ds_bpermute_b32 v4, v4, v2
	v_and_b32_e32 v10, 63, v9
	v_cmp_gt_u32_e64 s[0:1], 48, v10
	s_waitcnt lgkmcnt(0)
	s_barrier
	v_add_f64 v[1:2], v[1:2], v[3:4]
	v_cndmask_b32_e64 v3, 0, 16, s[0:1]
	v_add_lshl_u32 v4, v3, v9, 2
	v_cmp_gt_u32_e64 s[0:1], 56, v10
	ds_bpermute_b32 v3, v4, v1
	ds_bpermute_b32 v4, v4, v2
	s_waitcnt lgkmcnt(0)
	v_add_f64 v[1:2], v[1:2], v[3:4]
	v_cndmask_b32_e64 v3, 0, 8, s[0:1]
	v_add_lshl_u32 v4, v3, v9, 2
	v_cmp_gt_u32_e64 s[0:1], 60, v10
	ds_bpermute_b32 v3, v4, v1
	ds_bpermute_b32 v4, v4, v2
	s_waitcnt lgkmcnt(0)
	;; [unrolled: 7-line block ×3, first 2 shown]
	v_add_f64 v[1:2], v[1:2], v[3:4]
	v_cndmask_b32_e64 v3, 0, 2, s[0:1]
	v_add_lshl_u32 v8, v3, v9, 2
	v_cmp_ne_u32_e64 s[0:1], 63, v10
	ds_bpermute_b32 v3, v8, v1
	ds_bpermute_b32 v4, v8, v2
	s_waitcnt lgkmcnt(0)
	v_add_f64 v[1:2], v[1:2], v[3:4]
	v_addc_co_u32_e64 v3, s[0:1], 0, v9, s[0:1]
	v_lshlrev_b32_e32 v9, 2, v3
	v_cmp_eq_u32_e64 s[0:1], 0, v6
	ds_bpermute_b32 v3, v9, v1
	ds_bpermute_b32 v4, v9, v2
	s_and_saveexec_b64 s[2:3], s[0:1]
	s_cbranch_execz .LBB4_10
; %bb.9:
	s_waitcnt lgkmcnt(0)
	v_add_f64 v[1:2], v[1:2], v[3:4]
	v_lshrrev_b32_e32 v3, 3, v0
	v_and_b32_e32 v3, 56, v3
	ds_write_b64 v3, v[1:2]
.LBB4_10:
	s_or_b64 exec, exec, s[2:3]
	v_mov_b32_e32 v1, 0
	v_mov_b32_e32 v2, 0
	v_cmp_gt_u32_e64 s[0:1], 8, v0
	s_waitcnt lgkmcnt(0)
	s_barrier
	s_and_saveexec_b64 s[2:3], s[0:1]
	s_cbranch_execnz .LBB4_14
; %bb.11:
	s_or_b64 exec, exec, s[2:3]
	s_and_saveexec_b64 s[0:1], vcc
	s_cbranch_execnz .LBB4_15
.LBB4_12:
	s_or_b64 exec, exec, s[0:1]
	v_cmp_eq_u32_e32 vcc, 0, v0
	s_and_saveexec_b64 s[0:1], vcc
	s_cbranch_execnz .LBB4_16
.LBB4_13:
	s_endpgm
.LBB4_14:
	ds_read_b64 v[1:2], v5
	s_or_b64 exec, exec, s[2:3]
	s_and_saveexec_b64 s[0:1], vcc
	s_cbranch_execz .LBB4_12
.LBB4_15:
	s_waitcnt lgkmcnt(0)
	ds_bpermute_b32 v3, v7, v1
	ds_bpermute_b32 v4, v7, v2
	s_waitcnt lgkmcnt(0)
	v_add_f64 v[1:2], v[1:2], v[3:4]
	ds_bpermute_b32 v3, v8, v1
	ds_bpermute_b32 v4, v8, v2
	s_waitcnt lgkmcnt(0)
	v_add_f64 v[1:2], v[1:2], v[3:4]
	;; [unrolled: 4-line block ×3, first 2 shown]
	s_or_b64 exec, exec, s[0:1]
	v_cmp_eq_u32_e32 vcc, 0, v0
	s_and_saveexec_b64 s[0:1], vcc
	s_cbranch_execz .LBB4_13
.LBB4_16:
	s_lshl_b64 s[0:1], s[6:7], 3
	s_add_u32 s0, s10, s0
	s_addc_u32 s1, s11, s1
	v_mov_b32_e32 v0, 0
	s_waitcnt lgkmcnt(0)
	global_store_dwordx2 v0, v[1:2], s[0:1]
	s_endpgm
	.section	.rodata,"a",@progbits
	.p2align	6, 0x0
	.amdhsa_kernel _ZL30rocblas_reduction_kernel_part2ILi512ELi2E25rocblas_finalize_identityddEviPT2_PT3_
		.amdhsa_group_segment_fixed_size 512
		.amdhsa_private_segment_fixed_size 0
		.amdhsa_kernarg_size 24
		.amdhsa_user_sgpr_count 6
		.amdhsa_user_sgpr_private_segment_buffer 1
		.amdhsa_user_sgpr_dispatch_ptr 0
		.amdhsa_user_sgpr_queue_ptr 0
		.amdhsa_user_sgpr_kernarg_segment_ptr 1
		.amdhsa_user_sgpr_dispatch_id 0
		.amdhsa_user_sgpr_flat_scratch_init 0
		.amdhsa_user_sgpr_private_segment_size 0
		.amdhsa_uses_dynamic_stack 0
		.amdhsa_system_sgpr_private_segment_wavefront_offset 0
		.amdhsa_system_sgpr_workgroup_id_x 1
		.amdhsa_system_sgpr_workgroup_id_y 0
		.amdhsa_system_sgpr_workgroup_id_z 0
		.amdhsa_system_sgpr_workgroup_info 0
		.amdhsa_system_vgpr_workitem_id 0
		.amdhsa_next_free_vgpr 11
		.amdhsa_next_free_sgpr 16
		.amdhsa_reserve_vcc 1
		.amdhsa_reserve_flat_scratch 0
		.amdhsa_float_round_mode_32 0
		.amdhsa_float_round_mode_16_64 0
		.amdhsa_float_denorm_mode_32 3
		.amdhsa_float_denorm_mode_16_64 3
		.amdhsa_dx10_clamp 1
		.amdhsa_ieee_mode 1
		.amdhsa_fp16_overflow 0
		.amdhsa_exception_fp_ieee_invalid_op 0
		.amdhsa_exception_fp_denorm_src 0
		.amdhsa_exception_fp_ieee_div_zero 0
		.amdhsa_exception_fp_ieee_overflow 0
		.amdhsa_exception_fp_ieee_underflow 0
		.amdhsa_exception_fp_ieee_inexact 0
		.amdhsa_exception_int_div_zero 0
	.end_amdhsa_kernel
	.section	.text._ZL30rocblas_reduction_kernel_part2ILi512ELi2E25rocblas_finalize_identityddEviPT2_PT3_,"axG",@progbits,_ZL30rocblas_reduction_kernel_part2ILi512ELi2E25rocblas_finalize_identityddEviPT2_PT3_,comdat
.Lfunc_end4:
	.size	_ZL30rocblas_reduction_kernel_part2ILi512ELi2E25rocblas_finalize_identityddEviPT2_PT3_, .Lfunc_end4-_ZL30rocblas_reduction_kernel_part2ILi512ELi2E25rocblas_finalize_identityddEviPT2_PT3_
                                        ; -- End function
	.set _ZL30rocblas_reduction_kernel_part2ILi512ELi2E25rocblas_finalize_identityddEviPT2_PT3_.num_vgpr, 11
	.set _ZL30rocblas_reduction_kernel_part2ILi512ELi2E25rocblas_finalize_identityddEviPT2_PT3_.num_agpr, 0
	.set _ZL30rocblas_reduction_kernel_part2ILi512ELi2E25rocblas_finalize_identityddEviPT2_PT3_.numbered_sgpr, 16
	.set _ZL30rocblas_reduction_kernel_part2ILi512ELi2E25rocblas_finalize_identityddEviPT2_PT3_.num_named_barrier, 0
	.set _ZL30rocblas_reduction_kernel_part2ILi512ELi2E25rocblas_finalize_identityddEviPT2_PT3_.private_seg_size, 0
	.set _ZL30rocblas_reduction_kernel_part2ILi512ELi2E25rocblas_finalize_identityddEviPT2_PT3_.uses_vcc, 1
	.set _ZL30rocblas_reduction_kernel_part2ILi512ELi2E25rocblas_finalize_identityddEviPT2_PT3_.uses_flat_scratch, 0
	.set _ZL30rocblas_reduction_kernel_part2ILi512ELi2E25rocblas_finalize_identityddEviPT2_PT3_.has_dyn_sized_stack, 0
	.set _ZL30rocblas_reduction_kernel_part2ILi512ELi2E25rocblas_finalize_identityddEviPT2_PT3_.has_recursion, 0
	.set _ZL30rocblas_reduction_kernel_part2ILi512ELi2E25rocblas_finalize_identityddEviPT2_PT3_.has_indirect_call, 0
	.section	.AMDGPU.csdata,"",@progbits
; Kernel info:
; codeLenInByte = 904
; TotalNumSgprs: 20
; NumVgprs: 11
; ScratchSize: 0
; MemoryBound: 0
; FloatMode: 240
; IeeeMode: 1
; LDSByteSize: 512 bytes/workgroup (compile time only)
; SGPRBlocks: 2
; VGPRBlocks: 2
; NumSGPRsForWavesPerEU: 20
; NumVGPRsForWavesPerEU: 11
; Occupancy: 10
; WaveLimiterHint : 0
; COMPUTE_PGM_RSRC2:SCRATCH_EN: 0
; COMPUTE_PGM_RSRC2:USER_SGPR: 6
; COMPUTE_PGM_RSRC2:TRAP_HANDLER: 0
; COMPUTE_PGM_RSRC2:TGID_X_EN: 1
; COMPUTE_PGM_RSRC2:TGID_Y_EN: 0
; COMPUTE_PGM_RSRC2:TGID_Z_EN: 0
; COMPUTE_PGM_RSRC2:TIDIG_COMP_CNT: 0
	.section	.text._ZL30rocblas_reduction_kernel_part1IiLi512ELi2E18rocblas_fetch_asumIdEPKPKddEviiT3_lT_liPT4_,"axG",@progbits,_ZL30rocblas_reduction_kernel_part1IiLi512ELi2E18rocblas_fetch_asumIdEPKPKddEviiT3_lT_liPT4_,comdat
	.globl	_ZL30rocblas_reduction_kernel_part1IiLi512ELi2E18rocblas_fetch_asumIdEPKPKddEviiT3_lT_liPT4_ ; -- Begin function _ZL30rocblas_reduction_kernel_part1IiLi512ELi2E18rocblas_fetch_asumIdEPKPKddEviiT3_lT_liPT4_
	.p2align	8
	.type	_ZL30rocblas_reduction_kernel_part1IiLi512ELi2E18rocblas_fetch_asumIdEPKPKddEviiT3_lT_liPT4_,@function
_ZL30rocblas_reduction_kernel_part1IiLi512ELi2E18rocblas_fetch_asumIdEPKPKddEviiT3_lT_liPT4_: ; @_ZL30rocblas_reduction_kernel_part1IiLi512ELi2E18rocblas_fetch_asumIdEPKPKddEviiT3_lT_liPT4_
; %bb.0:
	s_load_dwordx2 s[8:9], s[4:5], 0x0
	v_lshl_or_b32 v3, s6, 9, v0
	v_mov_b32_e32 v4, 0
	v_mov_b32_e32 v1, 0
	s_mov_b32 s2, s7
	s_waitcnt lgkmcnt(0)
	s_ashr_i32 s11, s8, 31
	s_mov_b32 s10, s8
	v_cmp_gt_i64_e32 vcc, s[10:11], v[3:4]
	v_mov_b32_e32 v2, 0
	s_and_saveexec_b64 s[0:1], vcc
	s_cbranch_execz .LBB5_4
; %bb.1:
	s_load_dword s7, s[4:5], 0x18
	s_load_dwordx4 s[12:15], s[4:5], 0x8
	s_load_dword s20, s[4:5], 0x38
	s_mov_b32 s3, 0
	s_lshl_b64 s[16:17], s[2:3], 3
	s_waitcnt lgkmcnt(0)
	v_mad_u64_u32 v[1:2], s[18:19], v3, s7, 0
	s_ashr_i32 s3, s7, 31
	s_add_u32 s12, s12, s16
	s_addc_u32 s13, s13, s17
	s_load_dwordx2 s[12:13], s[12:13], 0x0
	v_mad_u64_u32 v[4:5], s[16:17], v3, s3, v[2:3]
	s_lshl_b64 s[14:15], s[14:15], 3
	v_mov_b32_e32 v2, v4
	s_waitcnt lgkmcnt(0)
	s_add_u32 s8, s12, s14
	v_lshlrev_b64 v[1:2], 3, v[1:2]
	s_addc_u32 s12, s13, s15
	v_mov_b32_e32 v4, s12
	v_add_co_u32_e32 v1, vcc, s8, v1
	v_addc_co_u32_e32 v2, vcc, v4, v2, vcc
	flat_load_dwordx2 v[1:2], v[1:2]
	s_lshl_b32 s13, s20, 9
	s_ashr_i32 s14, s13, 31
	s_waitcnt vmcnt(0) lgkmcnt(0)
	v_cmp_gt_f64_e32 vcc, 0, v[1:2]
	v_xor_b32_e32 v4, 0x80000000, v2
	v_cndmask_b32_e32 v2, v2, v4, vcc
	v_add_f64 v[1:2], v[1:2], 0
	v_mov_b32_e32 v4, s14
	v_add_co_u32_e32 v3, vcc, s13, v3
	v_addc_co_u32_e32 v4, vcc, 0, v4, vcc
	v_cmp_gt_i64_e32 vcc, s[10:11], v[3:4]
	s_and_saveexec_b64 s[10:11], vcc
	s_cbranch_execz .LBB5_3
; %bb.2:
	v_mul_lo_u32 v5, v4, s7
	v_mul_lo_u32 v6, v3, s3
	v_mad_u64_u32 v[3:4], s[14:15], v3, s7, 0
	v_add3_u32 v4, v4, v6, v5
	v_lshlrev_b64 v[3:4], 3, v[3:4]
	v_mov_b32_e32 v5, s12
	v_add_co_u32_e32 v3, vcc, s8, v3
	v_addc_co_u32_e32 v4, vcc, v5, v4, vcc
	flat_load_dwordx2 v[3:4], v[3:4]
	s_waitcnt vmcnt(0) lgkmcnt(0)
	v_cmp_gt_f64_e32 vcc, 0, v[3:4]
	v_xor_b32_e32 v5, 0x80000000, v4
	v_cndmask_b32_e32 v4, v4, v5, vcc
	v_add_f64 v[1:2], v[1:2], v[3:4]
.LBB5_3:
	s_or_b64 exec, exec, s[10:11]
.LBB5_4:
	s_or_b64 exec, exec, s[0:1]
	v_and_b32_e32 v6, 63, v0
	v_cmp_gt_u32_e32 vcc, 64, v0
	v_lshlrev_b32_e32 v5, 3, v6
	s_and_saveexec_b64 s[0:1], vcc
; %bb.5:
	v_mov_b32_e32 v3, 0
	v_mov_b32_e32 v4, v3
	ds_write_b64 v5, v[3:4]
; %bb.6:
	s_or_b64 exec, exec, s[0:1]
	v_mbcnt_lo_u32_b32 v3, -1, 0
	v_mbcnt_hi_u32_b32 v9, -1, v3
	v_mov_b32_e32 v3, 0x80
	v_lshl_or_b32 v4, v9, 2, v3
	ds_bpermute_b32 v3, v4, v1
	ds_bpermute_b32 v4, v4, v2
	v_and_b32_e32 v10, 63, v9
	v_cmp_gt_u32_e64 s[0:1], 48, v10
	s_waitcnt lgkmcnt(0)
	s_barrier
	v_add_f64 v[1:2], v[1:2], v[3:4]
	v_cndmask_b32_e64 v3, 0, 16, s[0:1]
	v_add_lshl_u32 v4, v3, v9, 2
	v_cmp_gt_u32_e64 s[0:1], 56, v10
	ds_bpermute_b32 v3, v4, v1
	ds_bpermute_b32 v4, v4, v2
	s_waitcnt lgkmcnt(0)
	v_add_f64 v[1:2], v[1:2], v[3:4]
	v_cndmask_b32_e64 v3, 0, 8, s[0:1]
	v_add_lshl_u32 v4, v3, v9, 2
	v_cmp_gt_u32_e64 s[0:1], 60, v10
	ds_bpermute_b32 v3, v4, v1
	ds_bpermute_b32 v4, v4, v2
	s_waitcnt lgkmcnt(0)
	;; [unrolled: 7-line block ×3, first 2 shown]
	v_add_f64 v[1:2], v[1:2], v[3:4]
	v_cndmask_b32_e64 v3, 0, 2, s[0:1]
	v_add_lshl_u32 v8, v3, v9, 2
	v_cmp_ne_u32_e64 s[0:1], 63, v10
	ds_bpermute_b32 v3, v8, v1
	ds_bpermute_b32 v4, v8, v2
	s_waitcnt lgkmcnt(0)
	v_add_f64 v[1:2], v[1:2], v[3:4]
	v_addc_co_u32_e64 v3, s[0:1], 0, v9, s[0:1]
	v_lshlrev_b32_e32 v9, 2, v3
	v_cmp_eq_u32_e64 s[0:1], 0, v6
	ds_bpermute_b32 v3, v9, v1
	ds_bpermute_b32 v4, v9, v2
	s_and_saveexec_b64 s[10:11], s[0:1]
	s_cbranch_execz .LBB5_8
; %bb.7:
	s_waitcnt lgkmcnt(0)
	v_add_f64 v[1:2], v[1:2], v[3:4]
	v_lshrrev_b32_e32 v3, 3, v0
	v_and_b32_e32 v3, 56, v3
	ds_write_b64 v3, v[1:2]
.LBB5_8:
	s_or_b64 exec, exec, s[10:11]
	v_mov_b32_e32 v1, 0
	v_mov_b32_e32 v2, 0
	v_cmp_gt_u32_e64 s[0:1], 8, v0
	s_waitcnt lgkmcnt(0)
	s_barrier
	s_and_saveexec_b64 s[10:11], s[0:1]
; %bb.9:
	ds_read_b64 v[1:2], v5
; %bb.10:
	s_or_b64 exec, exec, s[10:11]
	s_and_saveexec_b64 s[0:1], vcc
	s_cbranch_execz .LBB5_12
; %bb.11:
	s_waitcnt lgkmcnt(0)
	ds_bpermute_b32 v3, v7, v1
	ds_bpermute_b32 v4, v7, v2
	s_waitcnt lgkmcnt(0)
	v_add_f64 v[1:2], v[1:2], v[3:4]
	ds_bpermute_b32 v3, v8, v1
	ds_bpermute_b32 v4, v8, v2
	s_waitcnt lgkmcnt(0)
	v_add_f64 v[1:2], v[1:2], v[3:4]
	;; [unrolled: 4-line block ×3, first 2 shown]
.LBB5_12:
	s_or_b64 exec, exec, s[0:1]
	s_mov_b32 s1, 0
	v_cmp_eq_u32_e32 vcc, 0, v0
	s_and_saveexec_b64 s[10:11], vcc
	s_cbranch_execz .LBB5_14
; %bb.13:
	s_load_dwordx2 s[4:5], s[4:5], 0x30
	s_mul_i32 s0, s9, s2
	s_add_i32 s0, s0, s6
	s_lshl_b64 s[0:1], s[0:1], 3
	v_mov_b32_e32 v0, 0
	s_waitcnt lgkmcnt(0)
	s_add_u32 s0, s4, s0
	s_addc_u32 s1, s5, s1
	global_store_dwordx2 v0, v[1:2], s[0:1]
.LBB5_14:
	s_endpgm
	.section	.rodata,"a",@progbits
	.p2align	6, 0x0
	.amdhsa_kernel _ZL30rocblas_reduction_kernel_part1IiLi512ELi2E18rocblas_fetch_asumIdEPKPKddEviiT3_lT_liPT4_
		.amdhsa_group_segment_fixed_size 512
		.amdhsa_private_segment_fixed_size 0
		.amdhsa_kernarg_size 312
		.amdhsa_user_sgpr_count 6
		.amdhsa_user_sgpr_private_segment_buffer 1
		.amdhsa_user_sgpr_dispatch_ptr 0
		.amdhsa_user_sgpr_queue_ptr 0
		.amdhsa_user_sgpr_kernarg_segment_ptr 1
		.amdhsa_user_sgpr_dispatch_id 0
		.amdhsa_user_sgpr_flat_scratch_init 0
		.amdhsa_user_sgpr_private_segment_size 0
		.amdhsa_uses_dynamic_stack 0
		.amdhsa_system_sgpr_private_segment_wavefront_offset 0
		.amdhsa_system_sgpr_workgroup_id_x 1
		.amdhsa_system_sgpr_workgroup_id_y 0
		.amdhsa_system_sgpr_workgroup_id_z 1
		.amdhsa_system_sgpr_workgroup_info 0
		.amdhsa_system_vgpr_workitem_id 0
		.amdhsa_next_free_vgpr 11
		.amdhsa_next_free_sgpr 21
		.amdhsa_reserve_vcc 1
		.amdhsa_reserve_flat_scratch 0
		.amdhsa_float_round_mode_32 0
		.amdhsa_float_round_mode_16_64 0
		.amdhsa_float_denorm_mode_32 3
		.amdhsa_float_denorm_mode_16_64 3
		.amdhsa_dx10_clamp 1
		.amdhsa_ieee_mode 1
		.amdhsa_fp16_overflow 0
		.amdhsa_exception_fp_ieee_invalid_op 0
		.amdhsa_exception_fp_denorm_src 0
		.amdhsa_exception_fp_ieee_div_zero 0
		.amdhsa_exception_fp_ieee_overflow 0
		.amdhsa_exception_fp_ieee_underflow 0
		.amdhsa_exception_fp_ieee_inexact 0
		.amdhsa_exception_int_div_zero 0
	.end_amdhsa_kernel
	.section	.text._ZL30rocblas_reduction_kernel_part1IiLi512ELi2E18rocblas_fetch_asumIdEPKPKddEviiT3_lT_liPT4_,"axG",@progbits,_ZL30rocblas_reduction_kernel_part1IiLi512ELi2E18rocblas_fetch_asumIdEPKPKddEviiT3_lT_liPT4_,comdat
.Lfunc_end5:
	.size	_ZL30rocblas_reduction_kernel_part1IiLi512ELi2E18rocblas_fetch_asumIdEPKPKddEviiT3_lT_liPT4_, .Lfunc_end5-_ZL30rocblas_reduction_kernel_part1IiLi512ELi2E18rocblas_fetch_asumIdEPKPKddEviiT3_lT_liPT4_
                                        ; -- End function
	.set _ZL30rocblas_reduction_kernel_part1IiLi512ELi2E18rocblas_fetch_asumIdEPKPKddEviiT3_lT_liPT4_.num_vgpr, 11
	.set _ZL30rocblas_reduction_kernel_part1IiLi512ELi2E18rocblas_fetch_asumIdEPKPKddEviiT3_lT_liPT4_.num_agpr, 0
	.set _ZL30rocblas_reduction_kernel_part1IiLi512ELi2E18rocblas_fetch_asumIdEPKPKddEviiT3_lT_liPT4_.numbered_sgpr, 21
	.set _ZL30rocblas_reduction_kernel_part1IiLi512ELi2E18rocblas_fetch_asumIdEPKPKddEviiT3_lT_liPT4_.num_named_barrier, 0
	.set _ZL30rocblas_reduction_kernel_part1IiLi512ELi2E18rocblas_fetch_asumIdEPKPKddEviiT3_lT_liPT4_.private_seg_size, 0
	.set _ZL30rocblas_reduction_kernel_part1IiLi512ELi2E18rocblas_fetch_asumIdEPKPKddEviiT3_lT_liPT4_.uses_vcc, 1
	.set _ZL30rocblas_reduction_kernel_part1IiLi512ELi2E18rocblas_fetch_asumIdEPKPKddEviiT3_lT_liPT4_.uses_flat_scratch, 0
	.set _ZL30rocblas_reduction_kernel_part1IiLi512ELi2E18rocblas_fetch_asumIdEPKPKddEviiT3_lT_liPT4_.has_dyn_sized_stack, 0
	.set _ZL30rocblas_reduction_kernel_part1IiLi512ELi2E18rocblas_fetch_asumIdEPKPKddEviiT3_lT_liPT4_.has_recursion, 0
	.set _ZL30rocblas_reduction_kernel_part1IiLi512ELi2E18rocblas_fetch_asumIdEPKPKddEviiT3_lT_liPT4_.has_indirect_call, 0
	.section	.AMDGPU.csdata,"",@progbits
; Kernel info:
; codeLenInByte = 932
; TotalNumSgprs: 25
; NumVgprs: 11
; ScratchSize: 0
; MemoryBound: 0
; FloatMode: 240
; IeeeMode: 1
; LDSByteSize: 512 bytes/workgroup (compile time only)
; SGPRBlocks: 3
; VGPRBlocks: 2
; NumSGPRsForWavesPerEU: 25
; NumVGPRsForWavesPerEU: 11
; Occupancy: 10
; WaveLimiterHint : 1
; COMPUTE_PGM_RSRC2:SCRATCH_EN: 0
; COMPUTE_PGM_RSRC2:USER_SGPR: 6
; COMPUTE_PGM_RSRC2:TRAP_HANDLER: 0
; COMPUTE_PGM_RSRC2:TGID_X_EN: 1
; COMPUTE_PGM_RSRC2:TGID_Y_EN: 0
; COMPUTE_PGM_RSRC2:TGID_Z_EN: 1
; COMPUTE_PGM_RSRC2:TIDIG_COMP_CNT: 0
	.section	.text._ZL30rocblas_reduction_kernel_part1IiLi512ELi4E18rocblas_fetch_asumIfEPK19rocblas_complex_numIfEfEviiT3_lT_liPT4_,"axG",@progbits,_ZL30rocblas_reduction_kernel_part1IiLi512ELi4E18rocblas_fetch_asumIfEPK19rocblas_complex_numIfEfEviiT3_lT_liPT4_,comdat
	.globl	_ZL30rocblas_reduction_kernel_part1IiLi512ELi4E18rocblas_fetch_asumIfEPK19rocblas_complex_numIfEfEviiT3_lT_liPT4_ ; -- Begin function _ZL30rocblas_reduction_kernel_part1IiLi512ELi4E18rocblas_fetch_asumIfEPK19rocblas_complex_numIfEfEviiT3_lT_liPT4_
	.p2align	8
	.type	_ZL30rocblas_reduction_kernel_part1IiLi512ELi4E18rocblas_fetch_asumIfEPK19rocblas_complex_numIfEfEviiT3_lT_liPT4_,@function
_ZL30rocblas_reduction_kernel_part1IiLi512ELi4E18rocblas_fetch_asumIfEPK19rocblas_complex_numIfEfEviiT3_lT_liPT4_: ; @_ZL30rocblas_reduction_kernel_part1IiLi512ELi4E18rocblas_fetch_asumIfEPK19rocblas_complex_numIfEfEviiT3_lT_liPT4_
; %bb.0:
	s_load_dwordx2 s[2:3], s[4:5], 0x0
	v_lshl_or_b32 v1, s6, 9, v0
	v_mov_b32_e32 v2, 0
	s_waitcnt lgkmcnt(0)
	s_ashr_i32 s9, s2, 31
	s_mov_b32 s8, s2
	v_cmp_gt_i64_e32 vcc, s[8:9], v[1:2]
	s_mov_b32 s2, 0
	s_and_saveexec_b64 s[10:11], vcc
	s_cbranch_execz .LBB6_4
; %bb.1:
	s_load_dword s17, s[4:5], 0x18
	s_load_dword s16, s[4:5], 0x38
	s_load_dwordx4 s[12:15], s[4:5], 0x8
	s_load_dwordx2 s[0:1], s[4:5], 0x20
	s_waitcnt lgkmcnt(0)
	v_mad_u64_u32 v[5:6], s[18:19], s17, v1, 0
	s_lshl_b32 s16, s16, 9
	s_ashr_i32 s21, s16, 31
	v_mov_b32_e32 v2, s21
	v_add_co_u32_e32 v3, vcc, s16, v1
	s_ashr_i32 s20, s17, 31
	v_addc_co_u32_e32 v4, vcc, 0, v2, vcc
	v_mov_b32_e32 v2, v6
	s_mul_i32 s1, s1, s7
	s_mul_hi_u32 s22, s0, s7
	v_mad_u64_u32 v[1:2], s[18:19], s20, v1, v[2:3]
	s_add_i32 s1, s22, s1
	s_mul_i32 s0, s0, s7
	s_lshl_b64 s[0:1], s[0:1], 3
	s_lshl_b64 s[14:15], s[14:15], 3
	s_add_u32 s12, s12, s14
	v_mov_b32_e32 v6, v1
	s_addc_u32 s13, s13, s15
	v_lshlrev_b64 v[1:2], 3, v[5:6]
	s_add_u32 s0, s12, s0
	s_addc_u32 s1, s13, s1
	v_mov_b32_e32 v5, s1
	v_add_co_u32_e32 v1, vcc, s0, v1
	v_addc_co_u32_e32 v2, vcc, v5, v2, vcc
	s_mul_hi_i32 s1, s17, s16
	s_mul_i32 s0, s17, s16
	v_add_co_u32_e32 v5, vcc, 4, v1
	s_lshl_b64 s[12:13], s[0:1], 3
	v_addc_co_u32_e32 v6, vcc, 0, v2, vcc
	v_mov_b32_e32 v2, 0
	s_mov_b64 s[14:15], 0
	v_mov_b32_e32 v1, s21
	v_mov_b32_e32 v7, s13
.LBB6_2:                                ; =>This Inner Loop Header: Depth=1
	global_load_dwordx2 v[8:9], v[5:6], off offset:-4
	v_cmp_le_i64_e32 vcc, s[8:9], v[3:4]
	v_add_co_u32_e64 v3, s[0:1], s16, v3
	v_addc_co_u32_e64 v4, s[0:1], v4, v1, s[0:1]
	s_add_i32 s13, s2, 1
	v_add_co_u32_e64 v5, s[0:1], s12, v5
	v_addc_co_u32_e64 v6, s[0:1], v6, v7, s[0:1]
	s_cmp_gt_u32 s2, 2
	s_cselect_b64 s[0:1], -1, 0
	s_or_b64 s[0:1], s[0:1], vcc
	s_and_b64 s[0:1], exec, s[0:1]
	s_mov_b32 s2, s13
	s_or_b64 s[14:15], s[0:1], s[14:15]
	s_waitcnt vmcnt(0)
	v_cmp_gt_f32_e32 vcc, 0, v8
	v_cndmask_b32_e64 v8, v8, -v8, vcc
	v_cmp_gt_f32_e32 vcc, 0, v9
	v_cndmask_b32_e64 v9, v9, -v9, vcc
	v_add_f32_e32 v8, v8, v9
	v_add_f32_e32 v2, v2, v8
	s_andn2_b64 exec, exec, s[14:15]
	s_cbranch_execnz .LBB6_2
; %bb.3:
	s_or_b64 exec, exec, s[14:15]
.LBB6_4:
	s_or_b64 exec, exec, s[10:11]
	v_and_b32_e32 v3, 63, v0
	v_cmp_gt_u32_e32 vcc, 64, v0
	v_lshlrev_b32_e32 v1, 2, v3
	s_and_saveexec_b64 s[0:1], vcc
; %bb.5:
	v_mov_b32_e32 v4, 0
	ds_write_b32 v1, v4
; %bb.6:
	s_or_b64 exec, exec, s[0:1]
	v_mbcnt_lo_u32_b32 v4, -1, 0
	v_mbcnt_hi_u32_b32 v5, -1, v4
	v_mov_b32_e32 v4, 0x80
	v_lshl_or_b32 v4, v5, 2, v4
	ds_bpermute_b32 v4, v4, v2
	v_and_b32_e32 v6, 63, v5
	v_cmp_gt_u32_e64 s[0:1], 48, v6
	v_cndmask_b32_e64 v7, 0, 16, s[0:1]
	v_cmp_gt_u32_e64 s[0:1], 56, v6
	s_waitcnt lgkmcnt(0)
	v_add_f32_e32 v2, v2, v4
	v_add_lshl_u32 v4, v7, v5, 2
	ds_bpermute_b32 v4, v4, v2
	v_cndmask_b32_e64 v7, 0, 8, s[0:1]
	v_add_lshl_u32 v7, v7, v5, 2
	v_cmp_gt_u32_e64 s[0:1], 60, v6
	s_waitcnt lgkmcnt(0)
	v_add_f32_e32 v4, v2, v4
	ds_bpermute_b32 v7, v7, v4
	v_cndmask_b32_e64 v2, 0, 4, s[0:1]
	v_add_lshl_u32 v2, v2, v5, 2
	v_cmp_gt_u32_e64 s[0:1], 62, v6
	s_waitcnt lgkmcnt(0)
	s_barrier
	v_add_f32_e32 v7, v4, v7
	ds_bpermute_b32 v8, v2, v7
	v_cndmask_b32_e64 v4, 0, 2, s[0:1]
	v_add_lshl_u32 v4, v4, v5, 2
	v_cmp_ne_u32_e64 s[0:1], 63, v6
	v_addc_co_u32_e64 v5, s[0:1], 0, v5, s[0:1]
	s_waitcnt lgkmcnt(0)
	v_add_f32_e32 v7, v7, v8
	ds_bpermute_b32 v8, v4, v7
	v_lshlrev_b32_e32 v5, 2, v5
	v_cmp_eq_u32_e64 s[0:1], 0, v3
	s_waitcnt lgkmcnt(0)
	v_add_f32_e32 v6, v7, v8
	ds_bpermute_b32 v7, v5, v6
	s_and_saveexec_b64 s[8:9], s[0:1]
	s_cbranch_execz .LBB6_8
; %bb.7:
	s_waitcnt lgkmcnt(0)
	v_add_f32_e32 v3, v6, v7
	v_lshrrev_b32_e32 v6, 4, v0
	v_and_b32_e32 v6, 28, v6
	ds_write_b32 v6, v3
.LBB6_8:
	s_or_b64 exec, exec, s[8:9]
	v_cmp_gt_u32_e64 s[0:1], 8, v0
	v_mov_b32_e32 v3, 0
	s_waitcnt lgkmcnt(0)
	s_barrier
	s_and_saveexec_b64 s[8:9], s[0:1]
; %bb.9:
	ds_read_b32 v3, v1
; %bb.10:
	s_or_b64 exec, exec, s[8:9]
	s_and_saveexec_b64 s[0:1], vcc
	s_cbranch_execz .LBB6_12
; %bb.11:
	s_waitcnt lgkmcnt(0)
	ds_bpermute_b32 v1, v2, v3
	s_waitcnt lgkmcnt(0)
	v_add_f32_e32 v1, v3, v1
	ds_bpermute_b32 v2, v4, v1
	s_waitcnt lgkmcnt(0)
	v_add_f32_e32 v1, v1, v2
	;; [unrolled: 3-line block ×3, first 2 shown]
.LBB6_12:
	s_or_b64 exec, exec, s[0:1]
	s_mov_b32 s1, 0
	v_cmp_eq_u32_e32 vcc, 0, v0
	s_and_saveexec_b64 s[8:9], vcc
	s_cbranch_execz .LBB6_14
; %bb.13:
	s_load_dwordx2 s[4:5], s[4:5], 0x30
	s_mul_i32 s0, s3, s7
	s_add_i32 s0, s0, s6
	s_lshl_b64 s[0:1], s[0:1], 2
	v_mov_b32_e32 v0, 0
	s_waitcnt lgkmcnt(0)
	s_add_u32 s0, s4, s0
	s_addc_u32 s1, s5, s1
	global_store_dword v0, v3, s[0:1]
.LBB6_14:
	s_endpgm
	.section	.rodata,"a",@progbits
	.p2align	6, 0x0
	.amdhsa_kernel _ZL30rocblas_reduction_kernel_part1IiLi512ELi4E18rocblas_fetch_asumIfEPK19rocblas_complex_numIfEfEviiT3_lT_liPT4_
		.amdhsa_group_segment_fixed_size 256
		.amdhsa_private_segment_fixed_size 0
		.amdhsa_kernarg_size 312
		.amdhsa_user_sgpr_count 6
		.amdhsa_user_sgpr_private_segment_buffer 1
		.amdhsa_user_sgpr_dispatch_ptr 0
		.amdhsa_user_sgpr_queue_ptr 0
		.amdhsa_user_sgpr_kernarg_segment_ptr 1
		.amdhsa_user_sgpr_dispatch_id 0
		.amdhsa_user_sgpr_flat_scratch_init 0
		.amdhsa_user_sgpr_private_segment_size 0
		.amdhsa_uses_dynamic_stack 0
		.amdhsa_system_sgpr_private_segment_wavefront_offset 0
		.amdhsa_system_sgpr_workgroup_id_x 1
		.amdhsa_system_sgpr_workgroup_id_y 0
		.amdhsa_system_sgpr_workgroup_id_z 1
		.amdhsa_system_sgpr_workgroup_info 0
		.amdhsa_system_vgpr_workitem_id 0
		.amdhsa_next_free_vgpr 10
		.amdhsa_next_free_sgpr 23
		.amdhsa_reserve_vcc 1
		.amdhsa_reserve_flat_scratch 0
		.amdhsa_float_round_mode_32 0
		.amdhsa_float_round_mode_16_64 0
		.amdhsa_float_denorm_mode_32 3
		.amdhsa_float_denorm_mode_16_64 3
		.amdhsa_dx10_clamp 1
		.amdhsa_ieee_mode 1
		.amdhsa_fp16_overflow 0
		.amdhsa_exception_fp_ieee_invalid_op 0
		.amdhsa_exception_fp_denorm_src 0
		.amdhsa_exception_fp_ieee_div_zero 0
		.amdhsa_exception_fp_ieee_overflow 0
		.amdhsa_exception_fp_ieee_underflow 0
		.amdhsa_exception_fp_ieee_inexact 0
		.amdhsa_exception_int_div_zero 0
	.end_amdhsa_kernel
	.section	.text._ZL30rocblas_reduction_kernel_part1IiLi512ELi4E18rocblas_fetch_asumIfEPK19rocblas_complex_numIfEfEviiT3_lT_liPT4_,"axG",@progbits,_ZL30rocblas_reduction_kernel_part1IiLi512ELi4E18rocblas_fetch_asumIfEPK19rocblas_complex_numIfEfEviiT3_lT_liPT4_,comdat
.Lfunc_end6:
	.size	_ZL30rocblas_reduction_kernel_part1IiLi512ELi4E18rocblas_fetch_asumIfEPK19rocblas_complex_numIfEfEviiT3_lT_liPT4_, .Lfunc_end6-_ZL30rocblas_reduction_kernel_part1IiLi512ELi4E18rocblas_fetch_asumIfEPK19rocblas_complex_numIfEfEviiT3_lT_liPT4_
                                        ; -- End function
	.set _ZL30rocblas_reduction_kernel_part1IiLi512ELi4E18rocblas_fetch_asumIfEPK19rocblas_complex_numIfEfEviiT3_lT_liPT4_.num_vgpr, 10
	.set _ZL30rocblas_reduction_kernel_part1IiLi512ELi4E18rocblas_fetch_asumIfEPK19rocblas_complex_numIfEfEviiT3_lT_liPT4_.num_agpr, 0
	.set _ZL30rocblas_reduction_kernel_part1IiLi512ELi4E18rocblas_fetch_asumIfEPK19rocblas_complex_numIfEfEviiT3_lT_liPT4_.numbered_sgpr, 23
	.set _ZL30rocblas_reduction_kernel_part1IiLi512ELi4E18rocblas_fetch_asumIfEPK19rocblas_complex_numIfEfEviiT3_lT_liPT4_.num_named_barrier, 0
	.set _ZL30rocblas_reduction_kernel_part1IiLi512ELi4E18rocblas_fetch_asumIfEPK19rocblas_complex_numIfEfEviiT3_lT_liPT4_.private_seg_size, 0
	.set _ZL30rocblas_reduction_kernel_part1IiLi512ELi4E18rocblas_fetch_asumIfEPK19rocblas_complex_numIfEfEviiT3_lT_liPT4_.uses_vcc, 1
	.set _ZL30rocblas_reduction_kernel_part1IiLi512ELi4E18rocblas_fetch_asumIfEPK19rocblas_complex_numIfEfEviiT3_lT_liPT4_.uses_flat_scratch, 0
	.set _ZL30rocblas_reduction_kernel_part1IiLi512ELi4E18rocblas_fetch_asumIfEPK19rocblas_complex_numIfEfEviiT3_lT_liPT4_.has_dyn_sized_stack, 0
	.set _ZL30rocblas_reduction_kernel_part1IiLi512ELi4E18rocblas_fetch_asumIfEPK19rocblas_complex_numIfEfEviiT3_lT_liPT4_.has_recursion, 0
	.set _ZL30rocblas_reduction_kernel_part1IiLi512ELi4E18rocblas_fetch_asumIfEPK19rocblas_complex_numIfEfEviiT3_lT_liPT4_.has_indirect_call, 0
	.section	.AMDGPU.csdata,"",@progbits
; Kernel info:
; codeLenInByte = 836
; TotalNumSgprs: 27
; NumVgprs: 10
; ScratchSize: 0
; MemoryBound: 0
; FloatMode: 240
; IeeeMode: 1
; LDSByteSize: 256 bytes/workgroup (compile time only)
; SGPRBlocks: 3
; VGPRBlocks: 2
; NumSGPRsForWavesPerEU: 27
; NumVGPRsForWavesPerEU: 10
; Occupancy: 10
; WaveLimiterHint : 0
; COMPUTE_PGM_RSRC2:SCRATCH_EN: 0
; COMPUTE_PGM_RSRC2:USER_SGPR: 6
; COMPUTE_PGM_RSRC2:TRAP_HANDLER: 0
; COMPUTE_PGM_RSRC2:TGID_X_EN: 1
; COMPUTE_PGM_RSRC2:TGID_Y_EN: 0
; COMPUTE_PGM_RSRC2:TGID_Z_EN: 1
; COMPUTE_PGM_RSRC2:TIDIG_COMP_CNT: 0
	.section	.text._ZL30rocblas_reduction_kernel_part1IiLi512ELi4E18rocblas_fetch_asumIfEPKPK19rocblas_complex_numIfEfEviiT3_lT_liPT4_,"axG",@progbits,_ZL30rocblas_reduction_kernel_part1IiLi512ELi4E18rocblas_fetch_asumIfEPKPK19rocblas_complex_numIfEfEviiT3_lT_liPT4_,comdat
	.globl	_ZL30rocblas_reduction_kernel_part1IiLi512ELi4E18rocblas_fetch_asumIfEPKPK19rocblas_complex_numIfEfEviiT3_lT_liPT4_ ; -- Begin function _ZL30rocblas_reduction_kernel_part1IiLi512ELi4E18rocblas_fetch_asumIfEPKPK19rocblas_complex_numIfEfEviiT3_lT_liPT4_
	.p2align	8
	.type	_ZL30rocblas_reduction_kernel_part1IiLi512ELi4E18rocblas_fetch_asumIfEPKPK19rocblas_complex_numIfEfEviiT3_lT_liPT4_,@function
_ZL30rocblas_reduction_kernel_part1IiLi512ELi4E18rocblas_fetch_asumIfEPKPK19rocblas_complex_numIfEfEviiT3_lT_liPT4_: ; @_ZL30rocblas_reduction_kernel_part1IiLi512ELi4E18rocblas_fetch_asumIfEPKPK19rocblas_complex_numIfEfEviiT3_lT_liPT4_
; %bb.0:
	s_load_dwordx2 s[8:9], s[4:5], 0x0
	v_lshl_or_b32 v1, s6, 9, v0
	v_mov_b32_e32 v2, 0
	s_mov_b32 s2, s7
	s_waitcnt lgkmcnt(0)
	s_ashr_i32 s13, s8, 31
	s_mov_b32 s12, s8
	v_cmp_gt_i64_e32 vcc, s[12:13], v[1:2]
	s_and_saveexec_b64 s[10:11], vcc
	s_cbranch_execz .LBB7_4
; %bb.1:
	s_load_dword s8, s[4:5], 0x18
	s_load_dwordx4 s[16:19], s[4:5], 0x8
	s_mov_b32 s3, 0
	s_lshl_b64 s[0:1], s[2:3], 3
	s_load_dword s7, s[4:5], 0x38
	s_waitcnt lgkmcnt(0)
	v_mad_u64_u32 v[5:6], s[14:15], s8, v1, 0
	s_ashr_i32 s20, s8, 31
	s_add_u32 s0, s16, s0
	s_addc_u32 s1, s17, s1
	v_mov_b32_e32 v2, v6
	s_load_dwordx2 s[0:1], s[0:1], 0x0
	v_mad_u64_u32 v[2:3], s[14:15], s20, v1, v[2:3]
	s_lshl_b32 s7, s7, 9
	s_ashr_i32 s21, s7, 31
	v_mov_b32_e32 v6, v2
	s_lshl_b64 s[14:15], s[18:19], 3
	v_mov_b32_e32 v4, s21
	v_add_co_u32_e32 v3, vcc, s7, v1
	v_lshlrev_b64 v[1:2], 3, v[5:6]
	s_waitcnt lgkmcnt(0)
	s_add_u32 s0, s0, s14
	v_addc_co_u32_e32 v4, vcc, 0, v4, vcc
	s_addc_u32 s1, s1, s15
	v_mov_b32_e32 v6, s1
	v_add_co_u32_e32 v5, vcc, s0, v1
	s_mul_hi_i32 s1, s8, s7
	s_mul_i32 s0, s8, s7
	s_lshl_b64 s[14:15], s[0:1], 3
	v_addc_co_u32_e32 v6, vcc, v6, v2, vcc
	v_mov_b32_e32 v2, 0
	s_mov_b64 s[16:17], 0
	v_mov_b32_e32 v1, s21
	v_mov_b32_e32 v7, s15
.LBB7_2:                                ; =>This Inner Loop Header: Depth=1
	flat_load_dwordx2 v[8:9], v[5:6]
	v_cmp_le_i64_e32 vcc, s[12:13], v[3:4]
	v_add_co_u32_e64 v3, s[0:1], s7, v3
	v_addc_co_u32_e64 v4, s[0:1], v4, v1, s[0:1]
	s_add_i32 s8, s3, 1
	v_add_co_u32_e64 v5, s[0:1], s14, v5
	v_addc_co_u32_e64 v6, s[0:1], v6, v7, s[0:1]
	s_cmp_gt_u32 s3, 2
	s_cselect_b64 s[0:1], -1, 0
	s_or_b64 s[0:1], s[0:1], vcc
	s_and_b64 s[0:1], exec, s[0:1]
	s_mov_b32 s3, s8
	s_or_b64 s[16:17], s[0:1], s[16:17]
	s_waitcnt vmcnt(0) lgkmcnt(0)
	v_cmp_gt_f32_e32 vcc, 0, v8
	v_cndmask_b32_e64 v8, v8, -v8, vcc
	v_cmp_gt_f32_e32 vcc, 0, v9
	v_cndmask_b32_e64 v9, v9, -v9, vcc
	v_add_f32_e32 v8, v8, v9
	v_add_f32_e32 v2, v2, v8
	s_andn2_b64 exec, exec, s[16:17]
	s_cbranch_execnz .LBB7_2
; %bb.3:
	s_or_b64 exec, exec, s[16:17]
.LBB7_4:
	s_or_b64 exec, exec, s[10:11]
	v_and_b32_e32 v3, 63, v0
	v_cmp_gt_u32_e32 vcc, 64, v0
	v_lshlrev_b32_e32 v1, 2, v3
	s_and_saveexec_b64 s[0:1], vcc
; %bb.5:
	v_mov_b32_e32 v4, 0
	ds_write_b32 v1, v4
; %bb.6:
	s_or_b64 exec, exec, s[0:1]
	v_mbcnt_lo_u32_b32 v4, -1, 0
	v_mbcnt_hi_u32_b32 v5, -1, v4
	v_mov_b32_e32 v4, 0x80
	v_lshl_or_b32 v4, v5, 2, v4
	ds_bpermute_b32 v4, v4, v2
	v_and_b32_e32 v6, 63, v5
	v_cmp_gt_u32_e64 s[0:1], 48, v6
	v_cndmask_b32_e64 v7, 0, 16, s[0:1]
	v_cmp_gt_u32_e64 s[0:1], 56, v6
	s_waitcnt lgkmcnt(0)
	v_add_f32_e32 v2, v2, v4
	v_add_lshl_u32 v4, v7, v5, 2
	ds_bpermute_b32 v4, v4, v2
	v_cndmask_b32_e64 v7, 0, 8, s[0:1]
	v_add_lshl_u32 v7, v7, v5, 2
	v_cmp_gt_u32_e64 s[0:1], 60, v6
	s_waitcnt lgkmcnt(0)
	v_add_f32_e32 v4, v2, v4
	ds_bpermute_b32 v7, v7, v4
	v_cndmask_b32_e64 v2, 0, 4, s[0:1]
	v_add_lshl_u32 v2, v2, v5, 2
	v_cmp_gt_u32_e64 s[0:1], 62, v6
	s_waitcnt lgkmcnt(0)
	s_barrier
	v_add_f32_e32 v7, v4, v7
	ds_bpermute_b32 v8, v2, v7
	v_cndmask_b32_e64 v4, 0, 2, s[0:1]
	v_add_lshl_u32 v4, v4, v5, 2
	v_cmp_ne_u32_e64 s[0:1], 63, v6
	v_addc_co_u32_e64 v5, s[0:1], 0, v5, s[0:1]
	s_waitcnt lgkmcnt(0)
	v_add_f32_e32 v7, v7, v8
	ds_bpermute_b32 v8, v4, v7
	v_lshlrev_b32_e32 v5, 2, v5
	v_cmp_eq_u32_e64 s[0:1], 0, v3
	s_waitcnt lgkmcnt(0)
	v_add_f32_e32 v6, v7, v8
	ds_bpermute_b32 v7, v5, v6
	s_and_saveexec_b64 s[10:11], s[0:1]
	s_cbranch_execz .LBB7_8
; %bb.7:
	s_waitcnt lgkmcnt(0)
	v_add_f32_e32 v3, v6, v7
	v_lshrrev_b32_e32 v6, 4, v0
	v_and_b32_e32 v6, 28, v6
	ds_write_b32 v6, v3
.LBB7_8:
	s_or_b64 exec, exec, s[10:11]
	v_cmp_gt_u32_e64 s[0:1], 8, v0
	v_mov_b32_e32 v3, 0
	s_waitcnt lgkmcnt(0)
	s_barrier
	s_and_saveexec_b64 s[10:11], s[0:1]
; %bb.9:
	ds_read_b32 v3, v1
; %bb.10:
	s_or_b64 exec, exec, s[10:11]
	s_and_saveexec_b64 s[0:1], vcc
	s_cbranch_execz .LBB7_12
; %bb.11:
	s_waitcnt lgkmcnt(0)
	ds_bpermute_b32 v1, v2, v3
	s_waitcnt lgkmcnt(0)
	v_add_f32_e32 v1, v3, v1
	ds_bpermute_b32 v2, v4, v1
	s_waitcnt lgkmcnt(0)
	v_add_f32_e32 v1, v1, v2
	;; [unrolled: 3-line block ×3, first 2 shown]
.LBB7_12:
	s_or_b64 exec, exec, s[0:1]
	s_mov_b32 s1, 0
	v_cmp_eq_u32_e32 vcc, 0, v0
	s_and_saveexec_b64 s[10:11], vcc
	s_cbranch_execz .LBB7_14
; %bb.13:
	s_load_dwordx2 s[4:5], s[4:5], 0x30
	s_mul_i32 s0, s9, s2
	s_add_i32 s0, s0, s6
	s_lshl_b64 s[0:1], s[0:1], 2
	v_mov_b32_e32 v0, 0
	s_waitcnt lgkmcnt(0)
	s_add_u32 s0, s4, s0
	s_addc_u32 s1, s5, s1
	global_store_dword v0, v3, s[0:1]
.LBB7_14:
	s_endpgm
	.section	.rodata,"a",@progbits
	.p2align	6, 0x0
	.amdhsa_kernel _ZL30rocblas_reduction_kernel_part1IiLi512ELi4E18rocblas_fetch_asumIfEPKPK19rocblas_complex_numIfEfEviiT3_lT_liPT4_
		.amdhsa_group_segment_fixed_size 256
		.amdhsa_private_segment_fixed_size 0
		.amdhsa_kernarg_size 312
		.amdhsa_user_sgpr_count 6
		.amdhsa_user_sgpr_private_segment_buffer 1
		.amdhsa_user_sgpr_dispatch_ptr 0
		.amdhsa_user_sgpr_queue_ptr 0
		.amdhsa_user_sgpr_kernarg_segment_ptr 1
		.amdhsa_user_sgpr_dispatch_id 0
		.amdhsa_user_sgpr_flat_scratch_init 0
		.amdhsa_user_sgpr_private_segment_size 0
		.amdhsa_uses_dynamic_stack 0
		.amdhsa_system_sgpr_private_segment_wavefront_offset 0
		.amdhsa_system_sgpr_workgroup_id_x 1
		.amdhsa_system_sgpr_workgroup_id_y 0
		.amdhsa_system_sgpr_workgroup_id_z 1
		.amdhsa_system_sgpr_workgroup_info 0
		.amdhsa_system_vgpr_workitem_id 0
		.amdhsa_next_free_vgpr 10
		.amdhsa_next_free_sgpr 22
		.amdhsa_reserve_vcc 1
		.amdhsa_reserve_flat_scratch 0
		.amdhsa_float_round_mode_32 0
		.amdhsa_float_round_mode_16_64 0
		.amdhsa_float_denorm_mode_32 3
		.amdhsa_float_denorm_mode_16_64 3
		.amdhsa_dx10_clamp 1
		.amdhsa_ieee_mode 1
		.amdhsa_fp16_overflow 0
		.amdhsa_exception_fp_ieee_invalid_op 0
		.amdhsa_exception_fp_denorm_src 0
		.amdhsa_exception_fp_ieee_div_zero 0
		.amdhsa_exception_fp_ieee_overflow 0
		.amdhsa_exception_fp_ieee_underflow 0
		.amdhsa_exception_fp_ieee_inexact 0
		.amdhsa_exception_int_div_zero 0
	.end_amdhsa_kernel
	.section	.text._ZL30rocblas_reduction_kernel_part1IiLi512ELi4E18rocblas_fetch_asumIfEPKPK19rocblas_complex_numIfEfEviiT3_lT_liPT4_,"axG",@progbits,_ZL30rocblas_reduction_kernel_part1IiLi512ELi4E18rocblas_fetch_asumIfEPKPK19rocblas_complex_numIfEfEviiT3_lT_liPT4_,comdat
.Lfunc_end7:
	.size	_ZL30rocblas_reduction_kernel_part1IiLi512ELi4E18rocblas_fetch_asumIfEPKPK19rocblas_complex_numIfEfEviiT3_lT_liPT4_, .Lfunc_end7-_ZL30rocblas_reduction_kernel_part1IiLi512ELi4E18rocblas_fetch_asumIfEPKPK19rocblas_complex_numIfEfEviiT3_lT_liPT4_
                                        ; -- End function
	.set _ZL30rocblas_reduction_kernel_part1IiLi512ELi4E18rocblas_fetch_asumIfEPKPK19rocblas_complex_numIfEfEviiT3_lT_liPT4_.num_vgpr, 10
	.set _ZL30rocblas_reduction_kernel_part1IiLi512ELi4E18rocblas_fetch_asumIfEPKPK19rocblas_complex_numIfEfEviiT3_lT_liPT4_.num_agpr, 0
	.set _ZL30rocblas_reduction_kernel_part1IiLi512ELi4E18rocblas_fetch_asumIfEPKPK19rocblas_complex_numIfEfEviiT3_lT_liPT4_.numbered_sgpr, 22
	.set _ZL30rocblas_reduction_kernel_part1IiLi512ELi4E18rocblas_fetch_asumIfEPKPK19rocblas_complex_numIfEfEviiT3_lT_liPT4_.num_named_barrier, 0
	.set _ZL30rocblas_reduction_kernel_part1IiLi512ELi4E18rocblas_fetch_asumIfEPKPK19rocblas_complex_numIfEfEviiT3_lT_liPT4_.private_seg_size, 0
	.set _ZL30rocblas_reduction_kernel_part1IiLi512ELi4E18rocblas_fetch_asumIfEPKPK19rocblas_complex_numIfEfEviiT3_lT_liPT4_.uses_vcc, 1
	.set _ZL30rocblas_reduction_kernel_part1IiLi512ELi4E18rocblas_fetch_asumIfEPKPK19rocblas_complex_numIfEfEviiT3_lT_liPT4_.uses_flat_scratch, 0
	.set _ZL30rocblas_reduction_kernel_part1IiLi512ELi4E18rocblas_fetch_asumIfEPKPK19rocblas_complex_numIfEfEviiT3_lT_liPT4_.has_dyn_sized_stack, 0
	.set _ZL30rocblas_reduction_kernel_part1IiLi512ELi4E18rocblas_fetch_asumIfEPKPK19rocblas_complex_numIfEfEviiT3_lT_liPT4_.has_recursion, 0
	.set _ZL30rocblas_reduction_kernel_part1IiLi512ELi4E18rocblas_fetch_asumIfEPKPK19rocblas_complex_numIfEfEviiT3_lT_liPT4_.has_indirect_call, 0
	.section	.AMDGPU.csdata,"",@progbits
; Kernel info:
; codeLenInByte = 820
; TotalNumSgprs: 26
; NumVgprs: 10
; ScratchSize: 0
; MemoryBound: 0
; FloatMode: 240
; IeeeMode: 1
; LDSByteSize: 256 bytes/workgroup (compile time only)
; SGPRBlocks: 3
; VGPRBlocks: 2
; NumSGPRsForWavesPerEU: 26
; NumVGPRsForWavesPerEU: 10
; Occupancy: 10
; WaveLimiterHint : 0
; COMPUTE_PGM_RSRC2:SCRATCH_EN: 0
; COMPUTE_PGM_RSRC2:USER_SGPR: 6
; COMPUTE_PGM_RSRC2:TRAP_HANDLER: 0
; COMPUTE_PGM_RSRC2:TGID_X_EN: 1
; COMPUTE_PGM_RSRC2:TGID_Y_EN: 0
; COMPUTE_PGM_RSRC2:TGID_Z_EN: 1
; COMPUTE_PGM_RSRC2:TIDIG_COMP_CNT: 0
	.section	.text._ZL30rocblas_reduction_kernel_part1IiLi512ELi2E18rocblas_fetch_asumIdEPK19rocblas_complex_numIdEdEviiT3_lT_liPT4_,"axG",@progbits,_ZL30rocblas_reduction_kernel_part1IiLi512ELi2E18rocblas_fetch_asumIdEPK19rocblas_complex_numIdEdEviiT3_lT_liPT4_,comdat
	.globl	_ZL30rocblas_reduction_kernel_part1IiLi512ELi2E18rocblas_fetch_asumIdEPK19rocblas_complex_numIdEdEviiT3_lT_liPT4_ ; -- Begin function _ZL30rocblas_reduction_kernel_part1IiLi512ELi2E18rocblas_fetch_asumIdEPK19rocblas_complex_numIdEdEviiT3_lT_liPT4_
	.p2align	8
	.type	_ZL30rocblas_reduction_kernel_part1IiLi512ELi2E18rocblas_fetch_asumIdEPK19rocblas_complex_numIdEdEviiT3_lT_liPT4_,@function
_ZL30rocblas_reduction_kernel_part1IiLi512ELi2E18rocblas_fetch_asumIdEPK19rocblas_complex_numIdEdEviiT3_lT_liPT4_: ; @_ZL30rocblas_reduction_kernel_part1IiLi512ELi2E18rocblas_fetch_asumIdEPK19rocblas_complex_numIdEdEviiT3_lT_liPT4_
; %bb.0:
	s_load_dwordx2 s[2:3], s[4:5], 0x0
	v_lshl_or_b32 v3, s6, 9, v0
	v_mov_b32_e32 v4, 0
	v_mov_b32_e32 v1, 0
	;; [unrolled: 1-line block ×3, first 2 shown]
	s_waitcnt lgkmcnt(0)
	s_ashr_i32 s9, s2, 31
	s_mov_b32 s8, s2
	v_cmp_gt_i64_e32 vcc, s[8:9], v[3:4]
	s_and_saveexec_b64 s[0:1], vcc
	s_cbranch_execz .LBB8_4
; %bb.1:
	s_load_dword s2, s[4:5], 0x18
	s_load_dwordx2 s[16:17], s[4:5], 0x20
	s_load_dwordx4 s[12:15], s[4:5], 0x8
	s_load_dword s20, s[4:5], 0x38
	s_waitcnt lgkmcnt(0)
	v_mad_u64_u32 v[1:2], s[18:19], v3, s2, 0
	s_mul_i32 s11, s17, s7
	s_mul_hi_u32 s17, s16, s7
	s_add_i32 s17, s17, s11
	s_mul_i32 s16, s16, s7
	s_ashr_i32 s10, s2, 31
	s_lshl_b64 s[16:17], s[16:17], 4
	s_add_u32 s11, s12, s16
	s_addc_u32 s16, s13, s17
	v_mad_u64_u32 v[4:5], s[12:13], v3, s10, v[2:3]
	s_lshl_b64 s[12:13], s[14:15], 4
	s_add_u32 s11, s11, s12
	v_mov_b32_e32 v2, v4
	v_lshlrev_b64 v[1:2], 4, v[1:2]
	s_addc_u32 s12, s16, s13
	v_mov_b32_e32 v4, s12
	v_add_co_u32_e32 v1, vcc, s11, v1
	v_addc_co_u32_e32 v2, vcc, v4, v2, vcc
	global_load_dwordx4 v[4:7], v[1:2], off
	s_lshl_b32 s13, s20, 9
	s_ashr_i32 s14, s13, 31
	s_waitcnt vmcnt(0)
	v_cmp_gt_f64_e32 vcc, 0, v[4:5]
	v_xor_b32_e32 v1, 0x80000000, v5
	v_xor_b32_e32 v2, 0x80000000, v7
	v_cndmask_b32_e32 v5, v5, v1, vcc
	v_cmp_gt_f64_e32 vcc, 0, v[6:7]
	v_cndmask_b32_e32 v7, v7, v2, vcc
	v_add_f64 v[1:2], v[4:5], v[6:7]
	v_mov_b32_e32 v4, s14
	v_add_co_u32_e32 v3, vcc, s13, v3
	v_addc_co_u32_e32 v4, vcc, 0, v4, vcc
	v_cmp_gt_i64_e32 vcc, s[8:9], v[3:4]
	v_add_f64 v[1:2], v[1:2], 0
	s_and_saveexec_b64 s[8:9], vcc
	s_cbranch_execz .LBB8_3
; %bb.2:
	v_mul_lo_u32 v5, v4, s2
	v_mul_lo_u32 v6, v3, s10
	v_mad_u64_u32 v[3:4], s[14:15], v3, s2, 0
	v_add3_u32 v4, v4, v6, v5
	v_lshlrev_b64 v[3:4], 4, v[3:4]
	v_mov_b32_e32 v5, s12
	v_add_co_u32_e32 v3, vcc, s11, v3
	v_addc_co_u32_e32 v4, vcc, v5, v4, vcc
	global_load_dwordx4 v[3:6], v[3:4], off
	s_waitcnt vmcnt(0)
	v_cmp_gt_f64_e32 vcc, 0, v[3:4]
	v_xor_b32_e32 v7, 0x80000000, v4
	v_xor_b32_e32 v8, 0x80000000, v6
	v_cndmask_b32_e32 v4, v4, v7, vcc
	v_cmp_gt_f64_e32 vcc, 0, v[5:6]
	v_cndmask_b32_e32 v6, v6, v8, vcc
	v_add_f64 v[3:4], v[3:4], v[5:6]
	v_add_f64 v[1:2], v[1:2], v[3:4]
.LBB8_3:
	s_or_b64 exec, exec, s[8:9]
.LBB8_4:
	s_or_b64 exec, exec, s[0:1]
	v_and_b32_e32 v6, 63, v0
	v_cmp_gt_u32_e32 vcc, 64, v0
	v_lshlrev_b32_e32 v5, 3, v6
	s_and_saveexec_b64 s[0:1], vcc
; %bb.5:
	v_mov_b32_e32 v3, 0
	v_mov_b32_e32 v4, v3
	ds_write_b64 v5, v[3:4]
; %bb.6:
	s_or_b64 exec, exec, s[0:1]
	v_mbcnt_lo_u32_b32 v3, -1, 0
	v_mbcnt_hi_u32_b32 v9, -1, v3
	v_mov_b32_e32 v3, 0x80
	v_lshl_or_b32 v4, v9, 2, v3
	ds_bpermute_b32 v3, v4, v1
	ds_bpermute_b32 v4, v4, v2
	v_and_b32_e32 v10, 63, v9
	v_cmp_gt_u32_e64 s[0:1], 48, v10
	s_waitcnt lgkmcnt(0)
	s_barrier
	v_add_f64 v[1:2], v[1:2], v[3:4]
	v_cndmask_b32_e64 v3, 0, 16, s[0:1]
	v_add_lshl_u32 v4, v3, v9, 2
	v_cmp_gt_u32_e64 s[0:1], 56, v10
	ds_bpermute_b32 v3, v4, v1
	ds_bpermute_b32 v4, v4, v2
	s_waitcnt lgkmcnt(0)
	v_add_f64 v[1:2], v[1:2], v[3:4]
	v_cndmask_b32_e64 v3, 0, 8, s[0:1]
	v_add_lshl_u32 v4, v3, v9, 2
	v_cmp_gt_u32_e64 s[0:1], 60, v10
	ds_bpermute_b32 v3, v4, v1
	ds_bpermute_b32 v4, v4, v2
	s_waitcnt lgkmcnt(0)
	;; [unrolled: 7-line block ×3, first 2 shown]
	v_add_f64 v[1:2], v[1:2], v[3:4]
	v_cndmask_b32_e64 v3, 0, 2, s[0:1]
	v_add_lshl_u32 v8, v3, v9, 2
	v_cmp_ne_u32_e64 s[0:1], 63, v10
	ds_bpermute_b32 v3, v8, v1
	ds_bpermute_b32 v4, v8, v2
	s_waitcnt lgkmcnt(0)
	v_add_f64 v[1:2], v[1:2], v[3:4]
	v_addc_co_u32_e64 v3, s[0:1], 0, v9, s[0:1]
	v_lshlrev_b32_e32 v9, 2, v3
	v_cmp_eq_u32_e64 s[0:1], 0, v6
	ds_bpermute_b32 v3, v9, v1
	ds_bpermute_b32 v4, v9, v2
	s_and_saveexec_b64 s[8:9], s[0:1]
	s_cbranch_execz .LBB8_8
; %bb.7:
	s_waitcnt lgkmcnt(0)
	v_add_f64 v[1:2], v[1:2], v[3:4]
	v_lshrrev_b32_e32 v3, 3, v0
	v_and_b32_e32 v3, 56, v3
	ds_write_b64 v3, v[1:2]
.LBB8_8:
	s_or_b64 exec, exec, s[8:9]
	v_mov_b32_e32 v1, 0
	v_mov_b32_e32 v2, 0
	v_cmp_gt_u32_e64 s[0:1], 8, v0
	s_waitcnt lgkmcnt(0)
	s_barrier
	s_and_saveexec_b64 s[8:9], s[0:1]
; %bb.9:
	ds_read_b64 v[1:2], v5
; %bb.10:
	s_or_b64 exec, exec, s[8:9]
	s_and_saveexec_b64 s[0:1], vcc
	s_cbranch_execz .LBB8_12
; %bb.11:
	s_waitcnt lgkmcnt(0)
	ds_bpermute_b32 v3, v7, v1
	ds_bpermute_b32 v4, v7, v2
	s_waitcnt lgkmcnt(0)
	v_add_f64 v[1:2], v[1:2], v[3:4]
	ds_bpermute_b32 v3, v8, v1
	ds_bpermute_b32 v4, v8, v2
	s_waitcnt lgkmcnt(0)
	v_add_f64 v[1:2], v[1:2], v[3:4]
	;; [unrolled: 4-line block ×3, first 2 shown]
.LBB8_12:
	s_or_b64 exec, exec, s[0:1]
	s_mov_b32 s1, 0
	v_cmp_eq_u32_e32 vcc, 0, v0
	s_and_saveexec_b64 s[8:9], vcc
	s_cbranch_execz .LBB8_14
; %bb.13:
	s_load_dwordx2 s[4:5], s[4:5], 0x30
	s_mul_i32 s0, s3, s7
	s_add_i32 s0, s0, s6
	s_lshl_b64 s[0:1], s[0:1], 3
	v_mov_b32_e32 v0, 0
	s_waitcnt lgkmcnt(0)
	s_add_u32 s0, s4, s0
	s_addc_u32 s1, s5, s1
	global_store_dwordx2 v0, v[1:2], s[0:1]
.LBB8_14:
	s_endpgm
	.section	.rodata,"a",@progbits
	.p2align	6, 0x0
	.amdhsa_kernel _ZL30rocblas_reduction_kernel_part1IiLi512ELi2E18rocblas_fetch_asumIdEPK19rocblas_complex_numIdEdEviiT3_lT_liPT4_
		.amdhsa_group_segment_fixed_size 512
		.amdhsa_private_segment_fixed_size 0
		.amdhsa_kernarg_size 312
		.amdhsa_user_sgpr_count 6
		.amdhsa_user_sgpr_private_segment_buffer 1
		.amdhsa_user_sgpr_dispatch_ptr 0
		.amdhsa_user_sgpr_queue_ptr 0
		.amdhsa_user_sgpr_kernarg_segment_ptr 1
		.amdhsa_user_sgpr_dispatch_id 0
		.amdhsa_user_sgpr_flat_scratch_init 0
		.amdhsa_user_sgpr_private_segment_size 0
		.amdhsa_uses_dynamic_stack 0
		.amdhsa_system_sgpr_private_segment_wavefront_offset 0
		.amdhsa_system_sgpr_workgroup_id_x 1
		.amdhsa_system_sgpr_workgroup_id_y 0
		.amdhsa_system_sgpr_workgroup_id_z 1
		.amdhsa_system_sgpr_workgroup_info 0
		.amdhsa_system_vgpr_workitem_id 0
		.amdhsa_next_free_vgpr 11
		.amdhsa_next_free_sgpr 21
		.amdhsa_reserve_vcc 1
		.amdhsa_reserve_flat_scratch 0
		.amdhsa_float_round_mode_32 0
		.amdhsa_float_round_mode_16_64 0
		.amdhsa_float_denorm_mode_32 3
		.amdhsa_float_denorm_mode_16_64 3
		.amdhsa_dx10_clamp 1
		.amdhsa_ieee_mode 1
		.amdhsa_fp16_overflow 0
		.amdhsa_exception_fp_ieee_invalid_op 0
		.amdhsa_exception_fp_denorm_src 0
		.amdhsa_exception_fp_ieee_div_zero 0
		.amdhsa_exception_fp_ieee_overflow 0
		.amdhsa_exception_fp_ieee_underflow 0
		.amdhsa_exception_fp_ieee_inexact 0
		.amdhsa_exception_int_div_zero 0
	.end_amdhsa_kernel
	.section	.text._ZL30rocblas_reduction_kernel_part1IiLi512ELi2E18rocblas_fetch_asumIdEPK19rocblas_complex_numIdEdEviiT3_lT_liPT4_,"axG",@progbits,_ZL30rocblas_reduction_kernel_part1IiLi512ELi2E18rocblas_fetch_asumIdEPK19rocblas_complex_numIdEdEviiT3_lT_liPT4_,comdat
.Lfunc_end8:
	.size	_ZL30rocblas_reduction_kernel_part1IiLi512ELi2E18rocblas_fetch_asumIdEPK19rocblas_complex_numIdEdEviiT3_lT_liPT4_, .Lfunc_end8-_ZL30rocblas_reduction_kernel_part1IiLi512ELi2E18rocblas_fetch_asumIdEPK19rocblas_complex_numIdEdEviiT3_lT_liPT4_
                                        ; -- End function
	.set _ZL30rocblas_reduction_kernel_part1IiLi512ELi2E18rocblas_fetch_asumIdEPK19rocblas_complex_numIdEdEviiT3_lT_liPT4_.num_vgpr, 11
	.set _ZL30rocblas_reduction_kernel_part1IiLi512ELi2E18rocblas_fetch_asumIdEPK19rocblas_complex_numIdEdEviiT3_lT_liPT4_.num_agpr, 0
	.set _ZL30rocblas_reduction_kernel_part1IiLi512ELi2E18rocblas_fetch_asumIdEPK19rocblas_complex_numIdEdEviiT3_lT_liPT4_.numbered_sgpr, 21
	.set _ZL30rocblas_reduction_kernel_part1IiLi512ELi2E18rocblas_fetch_asumIdEPK19rocblas_complex_numIdEdEviiT3_lT_liPT4_.num_named_barrier, 0
	.set _ZL30rocblas_reduction_kernel_part1IiLi512ELi2E18rocblas_fetch_asumIdEPK19rocblas_complex_numIdEdEviiT3_lT_liPT4_.private_seg_size, 0
	.set _ZL30rocblas_reduction_kernel_part1IiLi512ELi2E18rocblas_fetch_asumIdEPK19rocblas_complex_numIdEdEviiT3_lT_liPT4_.uses_vcc, 1
	.set _ZL30rocblas_reduction_kernel_part1IiLi512ELi2E18rocblas_fetch_asumIdEPK19rocblas_complex_numIdEdEviiT3_lT_liPT4_.uses_flat_scratch, 0
	.set _ZL30rocblas_reduction_kernel_part1IiLi512ELi2E18rocblas_fetch_asumIdEPK19rocblas_complex_numIdEdEviiT3_lT_liPT4_.has_dyn_sized_stack, 0
	.set _ZL30rocblas_reduction_kernel_part1IiLi512ELi2E18rocblas_fetch_asumIdEPK19rocblas_complex_numIdEdEviiT3_lT_liPT4_.has_recursion, 0
	.set _ZL30rocblas_reduction_kernel_part1IiLi512ELi2E18rocblas_fetch_asumIdEPK19rocblas_complex_numIdEdEviiT3_lT_liPT4_.has_indirect_call, 0
	.section	.AMDGPU.csdata,"",@progbits
; Kernel info:
; codeLenInByte = 984
; TotalNumSgprs: 25
; NumVgprs: 11
; ScratchSize: 0
; MemoryBound: 0
; FloatMode: 240
; IeeeMode: 1
; LDSByteSize: 512 bytes/workgroup (compile time only)
; SGPRBlocks: 3
; VGPRBlocks: 2
; NumSGPRsForWavesPerEU: 25
; NumVGPRsForWavesPerEU: 11
; Occupancy: 10
; WaveLimiterHint : 0
; COMPUTE_PGM_RSRC2:SCRATCH_EN: 0
; COMPUTE_PGM_RSRC2:USER_SGPR: 6
; COMPUTE_PGM_RSRC2:TRAP_HANDLER: 0
; COMPUTE_PGM_RSRC2:TGID_X_EN: 1
; COMPUTE_PGM_RSRC2:TGID_Y_EN: 0
; COMPUTE_PGM_RSRC2:TGID_Z_EN: 1
; COMPUTE_PGM_RSRC2:TIDIG_COMP_CNT: 0
	.section	.text._ZL30rocblas_reduction_kernel_part1IiLi512ELi2E18rocblas_fetch_asumIdEPKPK19rocblas_complex_numIdEdEviiT3_lT_liPT4_,"axG",@progbits,_ZL30rocblas_reduction_kernel_part1IiLi512ELi2E18rocblas_fetch_asumIdEPKPK19rocblas_complex_numIdEdEviiT3_lT_liPT4_,comdat
	.globl	_ZL30rocblas_reduction_kernel_part1IiLi512ELi2E18rocblas_fetch_asumIdEPKPK19rocblas_complex_numIdEdEviiT3_lT_liPT4_ ; -- Begin function _ZL30rocblas_reduction_kernel_part1IiLi512ELi2E18rocblas_fetch_asumIdEPKPK19rocblas_complex_numIdEdEviiT3_lT_liPT4_
	.p2align	8
	.type	_ZL30rocblas_reduction_kernel_part1IiLi512ELi2E18rocblas_fetch_asumIdEPKPK19rocblas_complex_numIdEdEviiT3_lT_liPT4_,@function
_ZL30rocblas_reduction_kernel_part1IiLi512ELi2E18rocblas_fetch_asumIdEPKPK19rocblas_complex_numIdEdEviiT3_lT_liPT4_: ; @_ZL30rocblas_reduction_kernel_part1IiLi512ELi2E18rocblas_fetch_asumIdEPKPK19rocblas_complex_numIdEdEviiT3_lT_liPT4_
; %bb.0:
	s_load_dwordx2 s[8:9], s[4:5], 0x0
	v_lshl_or_b32 v3, s6, 9, v0
	v_mov_b32_e32 v4, 0
	v_mov_b32_e32 v1, 0
	s_mov_b32 s2, s7
	s_waitcnt lgkmcnt(0)
	s_ashr_i32 s11, s8, 31
	s_mov_b32 s10, s8
	v_cmp_gt_i64_e32 vcc, s[10:11], v[3:4]
	v_mov_b32_e32 v2, 0
	s_and_saveexec_b64 s[0:1], vcc
	s_cbranch_execz .LBB9_4
; %bb.1:
	s_load_dword s7, s[4:5], 0x18
	s_load_dwordx4 s[12:15], s[4:5], 0x8
	s_load_dword s20, s[4:5], 0x38
	s_mov_b32 s3, 0
	s_lshl_b64 s[16:17], s[2:3], 3
	s_waitcnt lgkmcnt(0)
	v_mad_u64_u32 v[1:2], s[18:19], v3, s7, 0
	s_ashr_i32 s3, s7, 31
	s_add_u32 s12, s12, s16
	s_addc_u32 s13, s13, s17
	s_load_dwordx2 s[12:13], s[12:13], 0x0
	v_mad_u64_u32 v[4:5], s[16:17], v3, s3, v[2:3]
	s_lshl_b64 s[14:15], s[14:15], 4
	v_mov_b32_e32 v2, v4
	s_waitcnt lgkmcnt(0)
	s_add_u32 s8, s12, s14
	v_lshlrev_b64 v[1:2], 4, v[1:2]
	s_addc_u32 s12, s13, s15
	v_mov_b32_e32 v4, s12
	v_add_co_u32_e32 v1, vcc, s8, v1
	v_addc_co_u32_e32 v2, vcc, v4, v2, vcc
	flat_load_dwordx4 v[4:7], v[1:2]
	s_lshl_b32 s13, s20, 9
	s_ashr_i32 s14, s13, 31
	s_waitcnt vmcnt(0) lgkmcnt(0)
	v_cmp_gt_f64_e32 vcc, 0, v[4:5]
	v_xor_b32_e32 v1, 0x80000000, v5
	v_xor_b32_e32 v2, 0x80000000, v7
	v_cndmask_b32_e32 v5, v5, v1, vcc
	v_cmp_gt_f64_e32 vcc, 0, v[6:7]
	v_cndmask_b32_e32 v7, v7, v2, vcc
	v_add_f64 v[1:2], v[4:5], v[6:7]
	v_mov_b32_e32 v4, s14
	v_add_co_u32_e32 v3, vcc, s13, v3
	v_addc_co_u32_e32 v4, vcc, 0, v4, vcc
	v_cmp_gt_i64_e32 vcc, s[10:11], v[3:4]
	v_add_f64 v[1:2], v[1:2], 0
	s_and_saveexec_b64 s[10:11], vcc
	s_cbranch_execz .LBB9_3
; %bb.2:
	v_mul_lo_u32 v5, v4, s7
	v_mul_lo_u32 v6, v3, s3
	v_mad_u64_u32 v[3:4], s[14:15], v3, s7, 0
	v_add3_u32 v4, v4, v6, v5
	v_lshlrev_b64 v[3:4], 4, v[3:4]
	v_mov_b32_e32 v5, s12
	v_add_co_u32_e32 v3, vcc, s8, v3
	v_addc_co_u32_e32 v4, vcc, v5, v4, vcc
	flat_load_dwordx4 v[3:6], v[3:4]
	s_waitcnt vmcnt(0) lgkmcnt(0)
	v_cmp_gt_f64_e32 vcc, 0, v[3:4]
	v_xor_b32_e32 v7, 0x80000000, v4
	v_xor_b32_e32 v8, 0x80000000, v6
	v_cndmask_b32_e32 v4, v4, v7, vcc
	v_cmp_gt_f64_e32 vcc, 0, v[5:6]
	v_cndmask_b32_e32 v6, v6, v8, vcc
	v_add_f64 v[3:4], v[3:4], v[5:6]
	v_add_f64 v[1:2], v[1:2], v[3:4]
.LBB9_3:
	s_or_b64 exec, exec, s[10:11]
.LBB9_4:
	s_or_b64 exec, exec, s[0:1]
	v_and_b32_e32 v6, 63, v0
	v_cmp_gt_u32_e32 vcc, 64, v0
	v_lshlrev_b32_e32 v5, 3, v6
	s_and_saveexec_b64 s[0:1], vcc
; %bb.5:
	v_mov_b32_e32 v3, 0
	v_mov_b32_e32 v4, v3
	ds_write_b64 v5, v[3:4]
; %bb.6:
	s_or_b64 exec, exec, s[0:1]
	v_mbcnt_lo_u32_b32 v3, -1, 0
	v_mbcnt_hi_u32_b32 v9, -1, v3
	v_mov_b32_e32 v3, 0x80
	v_lshl_or_b32 v4, v9, 2, v3
	ds_bpermute_b32 v3, v4, v1
	ds_bpermute_b32 v4, v4, v2
	v_and_b32_e32 v10, 63, v9
	v_cmp_gt_u32_e64 s[0:1], 48, v10
	s_waitcnt lgkmcnt(0)
	s_barrier
	v_add_f64 v[1:2], v[1:2], v[3:4]
	v_cndmask_b32_e64 v3, 0, 16, s[0:1]
	v_add_lshl_u32 v4, v3, v9, 2
	v_cmp_gt_u32_e64 s[0:1], 56, v10
	ds_bpermute_b32 v3, v4, v1
	ds_bpermute_b32 v4, v4, v2
	s_waitcnt lgkmcnt(0)
	v_add_f64 v[1:2], v[1:2], v[3:4]
	v_cndmask_b32_e64 v3, 0, 8, s[0:1]
	v_add_lshl_u32 v4, v3, v9, 2
	v_cmp_gt_u32_e64 s[0:1], 60, v10
	ds_bpermute_b32 v3, v4, v1
	ds_bpermute_b32 v4, v4, v2
	s_waitcnt lgkmcnt(0)
	;; [unrolled: 7-line block ×3, first 2 shown]
	v_add_f64 v[1:2], v[1:2], v[3:4]
	v_cndmask_b32_e64 v3, 0, 2, s[0:1]
	v_add_lshl_u32 v8, v3, v9, 2
	v_cmp_ne_u32_e64 s[0:1], 63, v10
	ds_bpermute_b32 v3, v8, v1
	ds_bpermute_b32 v4, v8, v2
	s_waitcnt lgkmcnt(0)
	v_add_f64 v[1:2], v[1:2], v[3:4]
	v_addc_co_u32_e64 v3, s[0:1], 0, v9, s[0:1]
	v_lshlrev_b32_e32 v9, 2, v3
	v_cmp_eq_u32_e64 s[0:1], 0, v6
	ds_bpermute_b32 v3, v9, v1
	ds_bpermute_b32 v4, v9, v2
	s_and_saveexec_b64 s[10:11], s[0:1]
	s_cbranch_execz .LBB9_8
; %bb.7:
	s_waitcnt lgkmcnt(0)
	v_add_f64 v[1:2], v[1:2], v[3:4]
	v_lshrrev_b32_e32 v3, 3, v0
	v_and_b32_e32 v3, 56, v3
	ds_write_b64 v3, v[1:2]
.LBB9_8:
	s_or_b64 exec, exec, s[10:11]
	v_mov_b32_e32 v1, 0
	v_mov_b32_e32 v2, 0
	v_cmp_gt_u32_e64 s[0:1], 8, v0
	s_waitcnt lgkmcnt(0)
	s_barrier
	s_and_saveexec_b64 s[10:11], s[0:1]
; %bb.9:
	ds_read_b64 v[1:2], v5
; %bb.10:
	s_or_b64 exec, exec, s[10:11]
	s_and_saveexec_b64 s[0:1], vcc
	s_cbranch_execz .LBB9_12
; %bb.11:
	s_waitcnt lgkmcnt(0)
	ds_bpermute_b32 v3, v7, v1
	ds_bpermute_b32 v4, v7, v2
	s_waitcnt lgkmcnt(0)
	v_add_f64 v[1:2], v[1:2], v[3:4]
	ds_bpermute_b32 v3, v8, v1
	ds_bpermute_b32 v4, v8, v2
	s_waitcnt lgkmcnt(0)
	v_add_f64 v[1:2], v[1:2], v[3:4]
	;; [unrolled: 4-line block ×3, first 2 shown]
.LBB9_12:
	s_or_b64 exec, exec, s[0:1]
	s_mov_b32 s1, 0
	v_cmp_eq_u32_e32 vcc, 0, v0
	s_and_saveexec_b64 s[10:11], vcc
	s_cbranch_execz .LBB9_14
; %bb.13:
	s_load_dwordx2 s[4:5], s[4:5], 0x30
	s_mul_i32 s0, s9, s2
	s_add_i32 s0, s0, s6
	s_lshl_b64 s[0:1], s[0:1], 3
	v_mov_b32_e32 v0, 0
	s_waitcnt lgkmcnt(0)
	s_add_u32 s0, s4, s0
	s_addc_u32 s1, s5, s1
	global_store_dwordx2 v0, v[1:2], s[0:1]
.LBB9_14:
	s_endpgm
	.section	.rodata,"a",@progbits
	.p2align	6, 0x0
	.amdhsa_kernel _ZL30rocblas_reduction_kernel_part1IiLi512ELi2E18rocblas_fetch_asumIdEPKPK19rocblas_complex_numIdEdEviiT3_lT_liPT4_
		.amdhsa_group_segment_fixed_size 512
		.amdhsa_private_segment_fixed_size 0
		.amdhsa_kernarg_size 312
		.amdhsa_user_sgpr_count 6
		.amdhsa_user_sgpr_private_segment_buffer 1
		.amdhsa_user_sgpr_dispatch_ptr 0
		.amdhsa_user_sgpr_queue_ptr 0
		.amdhsa_user_sgpr_kernarg_segment_ptr 1
		.amdhsa_user_sgpr_dispatch_id 0
		.amdhsa_user_sgpr_flat_scratch_init 0
		.amdhsa_user_sgpr_private_segment_size 0
		.amdhsa_uses_dynamic_stack 0
		.amdhsa_system_sgpr_private_segment_wavefront_offset 0
		.amdhsa_system_sgpr_workgroup_id_x 1
		.amdhsa_system_sgpr_workgroup_id_y 0
		.amdhsa_system_sgpr_workgroup_id_z 1
		.amdhsa_system_sgpr_workgroup_info 0
		.amdhsa_system_vgpr_workitem_id 0
		.amdhsa_next_free_vgpr 11
		.amdhsa_next_free_sgpr 21
		.amdhsa_reserve_vcc 1
		.amdhsa_reserve_flat_scratch 0
		.amdhsa_float_round_mode_32 0
		.amdhsa_float_round_mode_16_64 0
		.amdhsa_float_denorm_mode_32 3
		.amdhsa_float_denorm_mode_16_64 3
		.amdhsa_dx10_clamp 1
		.amdhsa_ieee_mode 1
		.amdhsa_fp16_overflow 0
		.amdhsa_exception_fp_ieee_invalid_op 0
		.amdhsa_exception_fp_denorm_src 0
		.amdhsa_exception_fp_ieee_div_zero 0
		.amdhsa_exception_fp_ieee_overflow 0
		.amdhsa_exception_fp_ieee_underflow 0
		.amdhsa_exception_fp_ieee_inexact 0
		.amdhsa_exception_int_div_zero 0
	.end_amdhsa_kernel
	.section	.text._ZL30rocblas_reduction_kernel_part1IiLi512ELi2E18rocblas_fetch_asumIdEPKPK19rocblas_complex_numIdEdEviiT3_lT_liPT4_,"axG",@progbits,_ZL30rocblas_reduction_kernel_part1IiLi512ELi2E18rocblas_fetch_asumIdEPKPK19rocblas_complex_numIdEdEviiT3_lT_liPT4_,comdat
.Lfunc_end9:
	.size	_ZL30rocblas_reduction_kernel_part1IiLi512ELi2E18rocblas_fetch_asumIdEPKPK19rocblas_complex_numIdEdEviiT3_lT_liPT4_, .Lfunc_end9-_ZL30rocblas_reduction_kernel_part1IiLi512ELi2E18rocblas_fetch_asumIdEPKPK19rocblas_complex_numIdEdEviiT3_lT_liPT4_
                                        ; -- End function
	.set _ZL30rocblas_reduction_kernel_part1IiLi512ELi2E18rocblas_fetch_asumIdEPKPK19rocblas_complex_numIdEdEviiT3_lT_liPT4_.num_vgpr, 11
	.set _ZL30rocblas_reduction_kernel_part1IiLi512ELi2E18rocblas_fetch_asumIdEPKPK19rocblas_complex_numIdEdEviiT3_lT_liPT4_.num_agpr, 0
	.set _ZL30rocblas_reduction_kernel_part1IiLi512ELi2E18rocblas_fetch_asumIdEPKPK19rocblas_complex_numIdEdEviiT3_lT_liPT4_.numbered_sgpr, 21
	.set _ZL30rocblas_reduction_kernel_part1IiLi512ELi2E18rocblas_fetch_asumIdEPKPK19rocblas_complex_numIdEdEviiT3_lT_liPT4_.num_named_barrier, 0
	.set _ZL30rocblas_reduction_kernel_part1IiLi512ELi2E18rocblas_fetch_asumIdEPKPK19rocblas_complex_numIdEdEviiT3_lT_liPT4_.private_seg_size, 0
	.set _ZL30rocblas_reduction_kernel_part1IiLi512ELi2E18rocblas_fetch_asumIdEPKPK19rocblas_complex_numIdEdEviiT3_lT_liPT4_.uses_vcc, 1
	.set _ZL30rocblas_reduction_kernel_part1IiLi512ELi2E18rocblas_fetch_asumIdEPKPK19rocblas_complex_numIdEdEviiT3_lT_liPT4_.uses_flat_scratch, 0
	.set _ZL30rocblas_reduction_kernel_part1IiLi512ELi2E18rocblas_fetch_asumIdEPKPK19rocblas_complex_numIdEdEviiT3_lT_liPT4_.has_dyn_sized_stack, 0
	.set _ZL30rocblas_reduction_kernel_part1IiLi512ELi2E18rocblas_fetch_asumIdEPKPK19rocblas_complex_numIdEdEviiT3_lT_liPT4_.has_recursion, 0
	.set _ZL30rocblas_reduction_kernel_part1IiLi512ELi2E18rocblas_fetch_asumIdEPKPK19rocblas_complex_numIdEdEviiT3_lT_liPT4_.has_indirect_call, 0
	.section	.AMDGPU.csdata,"",@progbits
; Kernel info:
; codeLenInByte = 980
; TotalNumSgprs: 25
; NumVgprs: 11
; ScratchSize: 0
; MemoryBound: 0
; FloatMode: 240
; IeeeMode: 1
; LDSByteSize: 512 bytes/workgroup (compile time only)
; SGPRBlocks: 3
; VGPRBlocks: 2
; NumSGPRsForWavesPerEU: 25
; NumVGPRsForWavesPerEU: 11
; Occupancy: 10
; WaveLimiterHint : 1
; COMPUTE_PGM_RSRC2:SCRATCH_EN: 0
; COMPUTE_PGM_RSRC2:USER_SGPR: 6
; COMPUTE_PGM_RSRC2:TRAP_HANDLER: 0
; COMPUTE_PGM_RSRC2:TGID_X_EN: 1
; COMPUTE_PGM_RSRC2:TGID_Y_EN: 0
; COMPUTE_PGM_RSRC2:TGID_Z_EN: 1
; COMPUTE_PGM_RSRC2:TIDIG_COMP_CNT: 0
	.section	.text._ZL30rocblas_reduction_kernel_part1IiLi512ELi4E18rocblas_fetch_nrm2IfEPKffEviiT3_lT_liPT4_,"axG",@progbits,_ZL30rocblas_reduction_kernel_part1IiLi512ELi4E18rocblas_fetch_nrm2IfEPKffEviiT3_lT_liPT4_,comdat
	.globl	_ZL30rocblas_reduction_kernel_part1IiLi512ELi4E18rocblas_fetch_nrm2IfEPKffEviiT3_lT_liPT4_ ; -- Begin function _ZL30rocblas_reduction_kernel_part1IiLi512ELi4E18rocblas_fetch_nrm2IfEPKffEviiT3_lT_liPT4_
	.p2align	8
	.type	_ZL30rocblas_reduction_kernel_part1IiLi512ELi4E18rocblas_fetch_nrm2IfEPKffEviiT3_lT_liPT4_,@function
_ZL30rocblas_reduction_kernel_part1IiLi512ELi4E18rocblas_fetch_nrm2IfEPKffEviiT3_lT_liPT4_: ; @_ZL30rocblas_reduction_kernel_part1IiLi512ELi4E18rocblas_fetch_nrm2IfEPKffEviiT3_lT_liPT4_
; %bb.0:
	s_load_dwordx2 s[2:3], s[4:5], 0x0
	v_lshl_or_b32 v1, s6, 9, v0
	v_mov_b32_e32 v2, 0
	s_waitcnt lgkmcnt(0)
	s_ashr_i32 s9, s2, 31
	s_mov_b32 s8, s2
	v_cmp_gt_i64_e32 vcc, s[8:9], v[1:2]
	s_mov_b32 s2, 0
	s_and_saveexec_b64 s[10:11], vcc
	s_cbranch_execz .LBB10_4
; %bb.1:
	s_load_dword s17, s[4:5], 0x18
	s_load_dword s16, s[4:5], 0x38
	s_load_dwordx4 s[12:15], s[4:5], 0x8
	s_load_dwordx2 s[0:1], s[4:5], 0x20
	s_waitcnt lgkmcnt(0)
	v_mad_u64_u32 v[5:6], s[18:19], s17, v1, 0
	s_lshl_b32 s16, s16, 9
	s_ashr_i32 s21, s16, 31
	v_mov_b32_e32 v2, s21
	v_add_co_u32_e32 v3, vcc, s16, v1
	s_ashr_i32 s20, s17, 31
	v_addc_co_u32_e32 v4, vcc, 0, v2, vcc
	v_mov_b32_e32 v2, v6
	s_mul_i32 s1, s1, s7
	s_mul_hi_u32 s22, s0, s7
	v_mad_u64_u32 v[1:2], s[18:19], s20, v1, v[2:3]
	s_add_i32 s1, s22, s1
	s_mul_i32 s0, s0, s7
	s_lshl_b64 s[0:1], s[0:1], 2
	s_lshl_b64 s[14:15], s[14:15], 2
	s_add_u32 s12, s12, s14
	v_mov_b32_e32 v6, v1
	s_addc_u32 s13, s13, s15
	v_lshlrev_b64 v[1:2], 2, v[5:6]
	s_add_u32 s0, s12, s0
	s_addc_u32 s1, s13, s1
	v_mov_b32_e32 v6, s1
	v_add_co_u32_e32 v5, vcc, s0, v1
	s_mul_hi_i32 s1, s17, s16
	s_mul_i32 s0, s17, s16
	s_lshl_b64 s[12:13], s[0:1], 2
	v_addc_co_u32_e32 v6, vcc, v6, v2, vcc
	v_mov_b32_e32 v2, 0
	s_mov_b64 s[14:15], 0
	v_mov_b32_e32 v1, s21
	v_mov_b32_e32 v7, s13
.LBB10_2:                               ; =>This Inner Loop Header: Depth=1
	global_load_dword v8, v[5:6], off
	v_cmp_le_i64_e32 vcc, s[8:9], v[3:4]
	v_add_co_u32_e64 v3, s[0:1], s16, v3
	v_addc_co_u32_e64 v4, s[0:1], v4, v1, s[0:1]
	s_add_i32 s13, s2, 1
	v_add_co_u32_e64 v5, s[0:1], s12, v5
	v_addc_co_u32_e64 v6, s[0:1], v6, v7, s[0:1]
	s_cmp_gt_u32 s2, 2
	s_cselect_b64 s[0:1], -1, 0
	s_or_b64 s[0:1], s[0:1], vcc
	s_and_b64 s[0:1], exec, s[0:1]
	s_mov_b32 s2, s13
	s_or_b64 s[14:15], s[0:1], s[14:15]
	s_waitcnt vmcnt(0)
	v_fmac_f32_e32 v2, v8, v8
	s_andn2_b64 exec, exec, s[14:15]
	s_cbranch_execnz .LBB10_2
; %bb.3:
	s_or_b64 exec, exec, s[14:15]
.LBB10_4:
	s_or_b64 exec, exec, s[10:11]
	v_and_b32_e32 v3, 63, v0
	v_cmp_gt_u32_e32 vcc, 64, v0
	v_lshlrev_b32_e32 v1, 2, v3
	s_and_saveexec_b64 s[0:1], vcc
; %bb.5:
	v_mov_b32_e32 v4, 0
	ds_write_b32 v1, v4
; %bb.6:
	s_or_b64 exec, exec, s[0:1]
	v_mbcnt_lo_u32_b32 v4, -1, 0
	v_mbcnt_hi_u32_b32 v5, -1, v4
	v_mov_b32_e32 v4, 0x80
	v_lshl_or_b32 v4, v5, 2, v4
	ds_bpermute_b32 v4, v4, v2
	v_and_b32_e32 v6, 63, v5
	v_cmp_gt_u32_e64 s[0:1], 48, v6
	v_cndmask_b32_e64 v7, 0, 16, s[0:1]
	v_cmp_gt_u32_e64 s[0:1], 56, v6
	s_waitcnt lgkmcnt(0)
	v_add_f32_e32 v2, v2, v4
	v_add_lshl_u32 v4, v7, v5, 2
	ds_bpermute_b32 v4, v4, v2
	v_cndmask_b32_e64 v7, 0, 8, s[0:1]
	v_add_lshl_u32 v7, v7, v5, 2
	v_cmp_gt_u32_e64 s[0:1], 60, v6
	s_waitcnt lgkmcnt(0)
	v_add_f32_e32 v4, v2, v4
	ds_bpermute_b32 v7, v7, v4
	v_cndmask_b32_e64 v2, 0, 4, s[0:1]
	v_add_lshl_u32 v2, v2, v5, 2
	v_cmp_gt_u32_e64 s[0:1], 62, v6
	s_waitcnt lgkmcnt(0)
	s_barrier
	v_add_f32_e32 v7, v4, v7
	ds_bpermute_b32 v8, v2, v7
	v_cndmask_b32_e64 v4, 0, 2, s[0:1]
	v_add_lshl_u32 v4, v4, v5, 2
	v_cmp_ne_u32_e64 s[0:1], 63, v6
	v_addc_co_u32_e64 v5, s[0:1], 0, v5, s[0:1]
	s_waitcnt lgkmcnt(0)
	v_add_f32_e32 v7, v7, v8
	ds_bpermute_b32 v8, v4, v7
	v_lshlrev_b32_e32 v5, 2, v5
	v_cmp_eq_u32_e64 s[0:1], 0, v3
	s_waitcnt lgkmcnt(0)
	v_add_f32_e32 v6, v7, v8
	ds_bpermute_b32 v7, v5, v6
	s_and_saveexec_b64 s[8:9], s[0:1]
	s_cbranch_execz .LBB10_8
; %bb.7:
	s_waitcnt lgkmcnt(0)
	v_add_f32_e32 v3, v6, v7
	v_lshrrev_b32_e32 v6, 4, v0
	v_and_b32_e32 v6, 28, v6
	ds_write_b32 v6, v3
.LBB10_8:
	s_or_b64 exec, exec, s[8:9]
	v_cmp_gt_u32_e64 s[0:1], 8, v0
	v_mov_b32_e32 v3, 0
	s_waitcnt lgkmcnt(0)
	s_barrier
	s_and_saveexec_b64 s[8:9], s[0:1]
; %bb.9:
	ds_read_b32 v3, v1
; %bb.10:
	s_or_b64 exec, exec, s[8:9]
	s_and_saveexec_b64 s[0:1], vcc
	s_cbranch_execz .LBB10_12
; %bb.11:
	s_waitcnt lgkmcnt(0)
	ds_bpermute_b32 v1, v2, v3
	s_waitcnt lgkmcnt(0)
	v_add_f32_e32 v1, v3, v1
	ds_bpermute_b32 v2, v4, v1
	s_waitcnt lgkmcnt(0)
	v_add_f32_e32 v1, v1, v2
	;; [unrolled: 3-line block ×3, first 2 shown]
.LBB10_12:
	s_or_b64 exec, exec, s[0:1]
	s_mov_b32 s1, 0
	v_cmp_eq_u32_e32 vcc, 0, v0
	s_and_saveexec_b64 s[8:9], vcc
	s_cbranch_execz .LBB10_14
; %bb.13:
	s_load_dwordx2 s[4:5], s[4:5], 0x30
	s_mul_i32 s0, s3, s7
	s_add_i32 s0, s0, s6
	s_lshl_b64 s[0:1], s[0:1], 2
	v_mov_b32_e32 v0, 0
	s_waitcnt lgkmcnt(0)
	s_add_u32 s0, s4, s0
	s_addc_u32 s1, s5, s1
	global_store_dword v0, v3, s[0:1]
.LBB10_14:
	s_endpgm
	.section	.rodata,"a",@progbits
	.p2align	6, 0x0
	.amdhsa_kernel _ZL30rocblas_reduction_kernel_part1IiLi512ELi4E18rocblas_fetch_nrm2IfEPKffEviiT3_lT_liPT4_
		.amdhsa_group_segment_fixed_size 256
		.amdhsa_private_segment_fixed_size 0
		.amdhsa_kernarg_size 312
		.amdhsa_user_sgpr_count 6
		.amdhsa_user_sgpr_private_segment_buffer 1
		.amdhsa_user_sgpr_dispatch_ptr 0
		.amdhsa_user_sgpr_queue_ptr 0
		.amdhsa_user_sgpr_kernarg_segment_ptr 1
		.amdhsa_user_sgpr_dispatch_id 0
		.amdhsa_user_sgpr_flat_scratch_init 0
		.amdhsa_user_sgpr_private_segment_size 0
		.amdhsa_uses_dynamic_stack 0
		.amdhsa_system_sgpr_private_segment_wavefront_offset 0
		.amdhsa_system_sgpr_workgroup_id_x 1
		.amdhsa_system_sgpr_workgroup_id_y 0
		.amdhsa_system_sgpr_workgroup_id_z 1
		.amdhsa_system_sgpr_workgroup_info 0
		.amdhsa_system_vgpr_workitem_id 0
		.amdhsa_next_free_vgpr 9
		.amdhsa_next_free_sgpr 23
		.amdhsa_reserve_vcc 1
		.amdhsa_reserve_flat_scratch 0
		.amdhsa_float_round_mode_32 0
		.amdhsa_float_round_mode_16_64 0
		.amdhsa_float_denorm_mode_32 3
		.amdhsa_float_denorm_mode_16_64 3
		.amdhsa_dx10_clamp 1
		.amdhsa_ieee_mode 1
		.amdhsa_fp16_overflow 0
		.amdhsa_exception_fp_ieee_invalid_op 0
		.amdhsa_exception_fp_denorm_src 0
		.amdhsa_exception_fp_ieee_div_zero 0
		.amdhsa_exception_fp_ieee_overflow 0
		.amdhsa_exception_fp_ieee_underflow 0
		.amdhsa_exception_fp_ieee_inexact 0
		.amdhsa_exception_int_div_zero 0
	.end_amdhsa_kernel
	.section	.text._ZL30rocblas_reduction_kernel_part1IiLi512ELi4E18rocblas_fetch_nrm2IfEPKffEviiT3_lT_liPT4_,"axG",@progbits,_ZL30rocblas_reduction_kernel_part1IiLi512ELi4E18rocblas_fetch_nrm2IfEPKffEviiT3_lT_liPT4_,comdat
.Lfunc_end10:
	.size	_ZL30rocblas_reduction_kernel_part1IiLi512ELi4E18rocblas_fetch_nrm2IfEPKffEviiT3_lT_liPT4_, .Lfunc_end10-_ZL30rocblas_reduction_kernel_part1IiLi512ELi4E18rocblas_fetch_nrm2IfEPKffEviiT3_lT_liPT4_
                                        ; -- End function
	.set _ZL30rocblas_reduction_kernel_part1IiLi512ELi4E18rocblas_fetch_nrm2IfEPKffEviiT3_lT_liPT4_.num_vgpr, 9
	.set _ZL30rocblas_reduction_kernel_part1IiLi512ELi4E18rocblas_fetch_nrm2IfEPKffEviiT3_lT_liPT4_.num_agpr, 0
	.set _ZL30rocblas_reduction_kernel_part1IiLi512ELi4E18rocblas_fetch_nrm2IfEPKffEviiT3_lT_liPT4_.numbered_sgpr, 23
	.set _ZL30rocblas_reduction_kernel_part1IiLi512ELi4E18rocblas_fetch_nrm2IfEPKffEviiT3_lT_liPT4_.num_named_barrier, 0
	.set _ZL30rocblas_reduction_kernel_part1IiLi512ELi4E18rocblas_fetch_nrm2IfEPKffEviiT3_lT_liPT4_.private_seg_size, 0
	.set _ZL30rocblas_reduction_kernel_part1IiLi512ELi4E18rocblas_fetch_nrm2IfEPKffEviiT3_lT_liPT4_.uses_vcc, 1
	.set _ZL30rocblas_reduction_kernel_part1IiLi512ELi4E18rocblas_fetch_nrm2IfEPKffEviiT3_lT_liPT4_.uses_flat_scratch, 0
	.set _ZL30rocblas_reduction_kernel_part1IiLi512ELi4E18rocblas_fetch_nrm2IfEPKffEviiT3_lT_liPT4_.has_dyn_sized_stack, 0
	.set _ZL30rocblas_reduction_kernel_part1IiLi512ELi4E18rocblas_fetch_nrm2IfEPKffEviiT3_lT_liPT4_.has_recursion, 0
	.set _ZL30rocblas_reduction_kernel_part1IiLi512ELi4E18rocblas_fetch_nrm2IfEPKffEviiT3_lT_liPT4_.has_indirect_call, 0
	.section	.AMDGPU.csdata,"",@progbits
; Kernel info:
; codeLenInByte = 800
; TotalNumSgprs: 27
; NumVgprs: 9
; ScratchSize: 0
; MemoryBound: 0
; FloatMode: 240
; IeeeMode: 1
; LDSByteSize: 256 bytes/workgroup (compile time only)
; SGPRBlocks: 3
; VGPRBlocks: 2
; NumSGPRsForWavesPerEU: 27
; NumVGPRsForWavesPerEU: 9
; Occupancy: 10
; WaveLimiterHint : 0
; COMPUTE_PGM_RSRC2:SCRATCH_EN: 0
; COMPUTE_PGM_RSRC2:USER_SGPR: 6
; COMPUTE_PGM_RSRC2:TRAP_HANDLER: 0
; COMPUTE_PGM_RSRC2:TGID_X_EN: 1
; COMPUTE_PGM_RSRC2:TGID_Y_EN: 0
; COMPUTE_PGM_RSRC2:TGID_Z_EN: 1
; COMPUTE_PGM_RSRC2:TIDIG_COMP_CNT: 0
	.section	.text._ZL30rocblas_reduction_kernel_part2ILi512ELi4E21rocblas_finalize_nrm2ffEviPT2_PT3_,"axG",@progbits,_ZL30rocblas_reduction_kernel_part2ILi512ELi4E21rocblas_finalize_nrm2ffEviPT2_PT3_,comdat
	.globl	_ZL30rocblas_reduction_kernel_part2ILi512ELi4E21rocblas_finalize_nrm2ffEviPT2_PT3_ ; -- Begin function _ZL30rocblas_reduction_kernel_part2ILi512ELi4E21rocblas_finalize_nrm2ffEviPT2_PT3_
	.p2align	8
	.type	_ZL30rocblas_reduction_kernel_part2ILi512ELi4E21rocblas_finalize_nrm2ffEviPT2_PT3_,@function
_ZL30rocblas_reduction_kernel_part2ILi512ELi4E21rocblas_finalize_nrm2ffEviPT2_PT3_: ; @_ZL30rocblas_reduction_kernel_part2ILi512ELi4E21rocblas_finalize_nrm2ffEviPT2_PT3_
; %bb.0:
	s_load_dword s12, s[4:5], 0x0
	s_load_dwordx4 s[0:3], s[4:5], 0x8
	v_lshlrev_b32_e32 v4, 2, v0
	s_mov_b32 s7, 0
	v_mov_b32_e32 v3, 0
	s_waitcnt lgkmcnt(0)
	s_ashr_i32 s8, s12, 31
	s_mul_i32 s5, s8, s6
	s_lshr_b32 s8, s8, 30
	s_add_i32 s8, s12, s8
	s_mul_hi_u32 s4, s12, s6
	s_and_b32 s13, s8, -4
	s_add_i32 s5, s4, s5
	s_mul_i32 s4, s12, s6
	v_cmp_gt_i32_e32 vcc, s13, v4
	s_and_saveexec_b64 s[8:9], vcc
	s_cbranch_execz .LBB11_4
; %bb.1:
	s_lshl_b64 s[10:11], s[4:5], 2
	s_add_u32 s10, s0, s10
	v_lshlrev_b32_e32 v1, 4, v0
	s_addc_u32 s11, s1, s11
	v_mov_b32_e32 v2, s11
	v_add_co_u32_e32 v1, vcc, s10, v1
	v_addc_co_u32_e32 v2, vcc, 0, v2, vcc
	v_add_co_u32_e32 v1, vcc, 8, v1
	v_mov_b32_e32 v3, 0
	v_addc_co_u32_e32 v2, vcc, 0, v2, vcc
	s_mov_b64 s[10:11], 0
.LBB11_2:                               ; =>This Inner Loop Header: Depth=1
	global_load_dwordx4 v[5:8], v[1:2], off offset:-8
	v_add_co_u32_e32 v1, vcc, 0x2000, v1
	v_add_u32_e32 v4, 0x800, v4
	v_addc_co_u32_e32 v2, vcc, 0, v2, vcc
	v_cmp_le_i32_e32 vcc, s13, v4
	s_or_b64 s[10:11], vcc, s[10:11]
	s_waitcnt vmcnt(0)
	v_add_f32_e32 v3, v3, v5
	v_add_f32_e32 v3, v3, v6
	;; [unrolled: 1-line block ×4, first 2 shown]
	s_andn2_b64 exec, exec, s[10:11]
	s_cbranch_execnz .LBB11_2
; %bb.3:
	s_or_b64 exec, exec, s[10:11]
.LBB11_4:
	s_or_b64 exec, exec, s[8:9]
	s_sub_i32 s8, s12, s13
	v_cmp_gt_u32_e32 vcc, s8, v0
	s_and_saveexec_b64 s[8:9], vcc
	s_cbranch_execz .LBB11_6
; %bb.5:
	s_lshl_b64 s[4:5], s[4:5], 2
	v_xad_u32 v1, v0, -1, s12
	v_mov_b32_e32 v2, 0
	s_add_u32 s0, s0, s4
	v_lshlrev_b64 v[1:2], 2, v[1:2]
	s_addc_u32 s1, s1, s5
	v_mov_b32_e32 v4, s1
	v_add_co_u32_e32 v1, vcc, s0, v1
	v_addc_co_u32_e32 v2, vcc, v4, v2, vcc
	global_load_dword v1, v[1:2], off
	s_waitcnt vmcnt(0)
	v_add_f32_e32 v3, v3, v1
.LBB11_6:
	s_or_b64 exec, exec, s[8:9]
	v_and_b32_e32 v2, 63, v0
	v_cmp_gt_u32_e32 vcc, 64, v0
	v_lshlrev_b32_e32 v1, 2, v2
	s_and_saveexec_b64 s[0:1], vcc
; %bb.7:
	v_mov_b32_e32 v4, 0
	ds_write_b32 v1, v4
; %bb.8:
	s_or_b64 exec, exec, s[0:1]
	v_mbcnt_lo_u32_b32 v4, -1, 0
	v_mbcnt_hi_u32_b32 v5, -1, v4
	v_mov_b32_e32 v4, 0x80
	v_lshl_or_b32 v4, v5, 2, v4
	ds_bpermute_b32 v4, v4, v3
	v_and_b32_e32 v6, 63, v5
	v_cmp_gt_u32_e64 s[0:1], 48, v6
	v_cndmask_b32_e64 v7, 0, 16, s[0:1]
	v_cmp_gt_u32_e64 s[0:1], 56, v6
	s_waitcnt lgkmcnt(0)
	v_add_f32_e32 v3, v3, v4
	v_add_lshl_u32 v4, v7, v5, 2
	ds_bpermute_b32 v4, v4, v3
	v_cndmask_b32_e64 v7, 0, 8, s[0:1]
	v_add_lshl_u32 v7, v7, v5, 2
	v_cmp_gt_u32_e64 s[0:1], 60, v6
	s_waitcnt lgkmcnt(0)
	v_add_f32_e32 v4, v3, v4
	ds_bpermute_b32 v7, v7, v4
	v_cndmask_b32_e64 v3, 0, 4, s[0:1]
	v_add_lshl_u32 v3, v3, v5, 2
	v_cmp_gt_u32_e64 s[0:1], 62, v6
	s_waitcnt lgkmcnt(0)
	s_barrier
	v_add_f32_e32 v7, v4, v7
	ds_bpermute_b32 v8, v3, v7
	v_cndmask_b32_e64 v4, 0, 2, s[0:1]
	v_add_lshl_u32 v4, v4, v5, 2
	v_cmp_ne_u32_e64 s[0:1], 63, v6
	v_addc_co_u32_e64 v5, s[0:1], 0, v5, s[0:1]
	s_waitcnt lgkmcnt(0)
	v_add_f32_e32 v7, v7, v8
	ds_bpermute_b32 v8, v4, v7
	v_lshlrev_b32_e32 v5, 2, v5
	v_cmp_eq_u32_e64 s[0:1], 0, v2
	s_waitcnt lgkmcnt(0)
	v_add_f32_e32 v6, v7, v8
	ds_bpermute_b32 v7, v5, v6
	s_and_saveexec_b64 s[4:5], s[0:1]
	s_cbranch_execz .LBB11_10
; %bb.9:
	s_waitcnt lgkmcnt(0)
	v_add_f32_e32 v2, v6, v7
	v_lshrrev_b32_e32 v6, 4, v0
	v_and_b32_e32 v6, 28, v6
	ds_write_b32 v6, v2
.LBB11_10:
	s_or_b64 exec, exec, s[4:5]
	v_cmp_gt_u32_e64 s[0:1], 8, v0
	v_mov_b32_e32 v2, 0
	s_waitcnt lgkmcnt(0)
	s_barrier
	s_and_saveexec_b64 s[4:5], s[0:1]
	s_cbranch_execnz .LBB11_14
; %bb.11:
	s_or_b64 exec, exec, s[4:5]
	s_and_saveexec_b64 s[0:1], vcc
	s_cbranch_execnz .LBB11_15
.LBB11_12:
	s_or_b64 exec, exec, s[0:1]
	v_cmp_eq_u32_e32 vcc, 0, v0
	s_and_saveexec_b64 s[0:1], vcc
	s_cbranch_execnz .LBB11_16
.LBB11_13:
	s_endpgm
.LBB11_14:
	ds_read_b32 v2, v1
	s_or_b64 exec, exec, s[4:5]
	s_and_saveexec_b64 s[0:1], vcc
	s_cbranch_execz .LBB11_12
.LBB11_15:
	s_waitcnt lgkmcnt(0)
	ds_bpermute_b32 v1, v3, v2
	s_waitcnt lgkmcnt(0)
	v_add_f32_e32 v1, v2, v1
	ds_bpermute_b32 v2, v4, v1
	s_waitcnt lgkmcnt(0)
	v_add_f32_e32 v1, v1, v2
	;; [unrolled: 3-line block ×3, first 2 shown]
	s_or_b64 exec, exec, s[0:1]
	v_cmp_eq_u32_e32 vcc, 0, v0
	s_and_saveexec_b64 s[0:1], vcc
	s_cbranch_execz .LBB11_13
.LBB11_16:
	s_mov_b32 s4, 0xf800000
	s_waitcnt lgkmcnt(0)
	v_mul_f32_e32 v0, 0x4f800000, v2
	v_cmp_gt_f32_e32 vcc, s4, v2
	v_cndmask_b32_e32 v0, v2, v0, vcc
	v_sqrt_f32_e32 v1, v0
	s_lshl_b64 s[0:1], s[6:7], 2
	s_add_u32 s2, s2, s0
	s_addc_u32 s3, s3, s1
	v_add_u32_e32 v3, -1, v1
	v_fma_f32 v4, -v3, v1, v0
	v_cmp_ge_f32_e64 s[0:1], 0, v4
	v_add_u32_e32 v4, 1, v1
	v_cndmask_b32_e64 v3, v1, v3, s[0:1]
	v_fma_f32 v1, -v4, v1, v0
	v_cmp_lt_f32_e64 s[0:1], 0, v1
	v_cndmask_b32_e64 v1, v3, v4, s[0:1]
	v_mul_f32_e32 v3, 0x37800000, v1
	v_cndmask_b32_e32 v1, v1, v3, vcc
	v_mov_b32_e32 v3, 0x260
	v_cmp_class_f32_e32 vcc, v0, v3
	v_mov_b32_e32 v2, 0
	v_cndmask_b32_e32 v0, v1, v0, vcc
	global_store_dword v2, v0, s[2:3]
	s_endpgm
	.section	.rodata,"a",@progbits
	.p2align	6, 0x0
	.amdhsa_kernel _ZL30rocblas_reduction_kernel_part2ILi512ELi4E21rocblas_finalize_nrm2ffEviPT2_PT3_
		.amdhsa_group_segment_fixed_size 256
		.amdhsa_private_segment_fixed_size 0
		.amdhsa_kernarg_size 24
		.amdhsa_user_sgpr_count 6
		.amdhsa_user_sgpr_private_segment_buffer 1
		.amdhsa_user_sgpr_dispatch_ptr 0
		.amdhsa_user_sgpr_queue_ptr 0
		.amdhsa_user_sgpr_kernarg_segment_ptr 1
		.amdhsa_user_sgpr_dispatch_id 0
		.amdhsa_user_sgpr_flat_scratch_init 0
		.amdhsa_user_sgpr_private_segment_size 0
		.amdhsa_uses_dynamic_stack 0
		.amdhsa_system_sgpr_private_segment_wavefront_offset 0
		.amdhsa_system_sgpr_workgroup_id_x 1
		.amdhsa_system_sgpr_workgroup_id_y 0
		.amdhsa_system_sgpr_workgroup_id_z 0
		.amdhsa_system_sgpr_workgroup_info 0
		.amdhsa_system_vgpr_workitem_id 0
		.amdhsa_next_free_vgpr 9
		.amdhsa_next_free_sgpr 14
		.amdhsa_reserve_vcc 1
		.amdhsa_reserve_flat_scratch 0
		.amdhsa_float_round_mode_32 0
		.amdhsa_float_round_mode_16_64 0
		.amdhsa_float_denorm_mode_32 3
		.amdhsa_float_denorm_mode_16_64 3
		.amdhsa_dx10_clamp 1
		.amdhsa_ieee_mode 1
		.amdhsa_fp16_overflow 0
		.amdhsa_exception_fp_ieee_invalid_op 0
		.amdhsa_exception_fp_denorm_src 0
		.amdhsa_exception_fp_ieee_div_zero 0
		.amdhsa_exception_fp_ieee_overflow 0
		.amdhsa_exception_fp_ieee_underflow 0
		.amdhsa_exception_fp_ieee_inexact 0
		.amdhsa_exception_int_div_zero 0
	.end_amdhsa_kernel
	.section	.text._ZL30rocblas_reduction_kernel_part2ILi512ELi4E21rocblas_finalize_nrm2ffEviPT2_PT3_,"axG",@progbits,_ZL30rocblas_reduction_kernel_part2ILi512ELi4E21rocblas_finalize_nrm2ffEviPT2_PT3_,comdat
.Lfunc_end11:
	.size	_ZL30rocblas_reduction_kernel_part2ILi512ELi4E21rocblas_finalize_nrm2ffEviPT2_PT3_, .Lfunc_end11-_ZL30rocblas_reduction_kernel_part2ILi512ELi4E21rocblas_finalize_nrm2ffEviPT2_PT3_
                                        ; -- End function
	.set _ZL30rocblas_reduction_kernel_part2ILi512ELi4E21rocblas_finalize_nrm2ffEviPT2_PT3_.num_vgpr, 9
	.set _ZL30rocblas_reduction_kernel_part2ILi512ELi4E21rocblas_finalize_nrm2ffEviPT2_PT3_.num_agpr, 0
	.set _ZL30rocblas_reduction_kernel_part2ILi512ELi4E21rocblas_finalize_nrm2ffEviPT2_PT3_.numbered_sgpr, 14
	.set _ZL30rocblas_reduction_kernel_part2ILi512ELi4E21rocblas_finalize_nrm2ffEviPT2_PT3_.num_named_barrier, 0
	.set _ZL30rocblas_reduction_kernel_part2ILi512ELi4E21rocblas_finalize_nrm2ffEviPT2_PT3_.private_seg_size, 0
	.set _ZL30rocblas_reduction_kernel_part2ILi512ELi4E21rocblas_finalize_nrm2ffEviPT2_PT3_.uses_vcc, 1
	.set _ZL30rocblas_reduction_kernel_part2ILi512ELi4E21rocblas_finalize_nrm2ffEviPT2_PT3_.uses_flat_scratch, 0
	.set _ZL30rocblas_reduction_kernel_part2ILi512ELi4E21rocblas_finalize_nrm2ffEviPT2_PT3_.has_dyn_sized_stack, 0
	.set _ZL30rocblas_reduction_kernel_part2ILi512ELi4E21rocblas_finalize_nrm2ffEviPT2_PT3_.has_recursion, 0
	.set _ZL30rocblas_reduction_kernel_part2ILi512ELi4E21rocblas_finalize_nrm2ffEviPT2_PT3_.has_indirect_call, 0
	.section	.AMDGPU.csdata,"",@progbits
; Kernel info:
; codeLenInByte = 884
; TotalNumSgprs: 18
; NumVgprs: 9
; ScratchSize: 0
; MemoryBound: 0
; FloatMode: 240
; IeeeMode: 1
; LDSByteSize: 256 bytes/workgroup (compile time only)
; SGPRBlocks: 2
; VGPRBlocks: 2
; NumSGPRsForWavesPerEU: 18
; NumVGPRsForWavesPerEU: 9
; Occupancy: 10
; WaveLimiterHint : 0
; COMPUTE_PGM_RSRC2:SCRATCH_EN: 0
; COMPUTE_PGM_RSRC2:USER_SGPR: 6
; COMPUTE_PGM_RSRC2:TRAP_HANDLER: 0
; COMPUTE_PGM_RSRC2:TGID_X_EN: 1
; COMPUTE_PGM_RSRC2:TGID_Y_EN: 0
; COMPUTE_PGM_RSRC2:TGID_Z_EN: 0
; COMPUTE_PGM_RSRC2:TIDIG_COMP_CNT: 0
	.section	.text._ZL30rocblas_reduction_kernel_part1IiLi512ELi4E18rocblas_fetch_nrm2IfEPKPKffEviiT3_lT_liPT4_,"axG",@progbits,_ZL30rocblas_reduction_kernel_part1IiLi512ELi4E18rocblas_fetch_nrm2IfEPKPKffEviiT3_lT_liPT4_,comdat
	.globl	_ZL30rocblas_reduction_kernel_part1IiLi512ELi4E18rocblas_fetch_nrm2IfEPKPKffEviiT3_lT_liPT4_ ; -- Begin function _ZL30rocblas_reduction_kernel_part1IiLi512ELi4E18rocblas_fetch_nrm2IfEPKPKffEviiT3_lT_liPT4_
	.p2align	8
	.type	_ZL30rocblas_reduction_kernel_part1IiLi512ELi4E18rocblas_fetch_nrm2IfEPKPKffEviiT3_lT_liPT4_,@function
_ZL30rocblas_reduction_kernel_part1IiLi512ELi4E18rocblas_fetch_nrm2IfEPKPKffEviiT3_lT_liPT4_: ; @_ZL30rocblas_reduction_kernel_part1IiLi512ELi4E18rocblas_fetch_nrm2IfEPKPKffEviiT3_lT_liPT4_
; %bb.0:
	s_load_dwordx2 s[8:9], s[4:5], 0x0
	v_lshl_or_b32 v1, s6, 9, v0
	v_mov_b32_e32 v2, 0
	s_mov_b32 s2, s7
	s_waitcnt lgkmcnt(0)
	s_ashr_i32 s13, s8, 31
	s_mov_b32 s12, s8
	v_cmp_gt_i64_e32 vcc, s[12:13], v[1:2]
	s_and_saveexec_b64 s[10:11], vcc
	s_cbranch_execz .LBB12_4
; %bb.1:
	s_load_dword s8, s[4:5], 0x18
	s_load_dwordx4 s[16:19], s[4:5], 0x8
	s_mov_b32 s3, 0
	s_lshl_b64 s[0:1], s[2:3], 3
	s_load_dword s7, s[4:5], 0x38
	s_waitcnt lgkmcnt(0)
	v_mad_u64_u32 v[5:6], s[14:15], s8, v1, 0
	s_ashr_i32 s20, s8, 31
	s_add_u32 s0, s16, s0
	s_addc_u32 s1, s17, s1
	v_mov_b32_e32 v2, v6
	s_load_dwordx2 s[0:1], s[0:1], 0x0
	v_mad_u64_u32 v[2:3], s[14:15], s20, v1, v[2:3]
	s_lshl_b32 s7, s7, 9
	s_ashr_i32 s21, s7, 31
	v_mov_b32_e32 v6, v2
	s_lshl_b64 s[14:15], s[18:19], 2
	v_mov_b32_e32 v4, s21
	v_add_co_u32_e32 v3, vcc, s7, v1
	v_lshlrev_b64 v[1:2], 2, v[5:6]
	s_waitcnt lgkmcnt(0)
	s_add_u32 s0, s0, s14
	v_addc_co_u32_e32 v4, vcc, 0, v4, vcc
	s_addc_u32 s1, s1, s15
	v_mov_b32_e32 v6, s1
	v_add_co_u32_e32 v5, vcc, s0, v1
	s_mul_hi_i32 s1, s8, s7
	s_mul_i32 s0, s8, s7
	s_lshl_b64 s[14:15], s[0:1], 2
	v_addc_co_u32_e32 v6, vcc, v6, v2, vcc
	v_mov_b32_e32 v2, 0
	s_mov_b64 s[16:17], 0
	v_mov_b32_e32 v1, s21
	v_mov_b32_e32 v7, s15
.LBB12_2:                               ; =>This Inner Loop Header: Depth=1
	flat_load_dword v8, v[5:6]
	v_cmp_le_i64_e32 vcc, s[12:13], v[3:4]
	v_add_co_u32_e64 v3, s[0:1], s7, v3
	v_addc_co_u32_e64 v4, s[0:1], v4, v1, s[0:1]
	s_add_i32 s8, s3, 1
	v_add_co_u32_e64 v5, s[0:1], s14, v5
	v_addc_co_u32_e64 v6, s[0:1], v6, v7, s[0:1]
	s_cmp_gt_u32 s3, 2
	s_cselect_b64 s[0:1], -1, 0
	s_or_b64 s[0:1], s[0:1], vcc
	s_and_b64 s[0:1], exec, s[0:1]
	s_mov_b32 s3, s8
	s_or_b64 s[16:17], s[0:1], s[16:17]
	s_waitcnt vmcnt(0) lgkmcnt(0)
	v_fmac_f32_e32 v2, v8, v8
	s_andn2_b64 exec, exec, s[16:17]
	s_cbranch_execnz .LBB12_2
; %bb.3:
	s_or_b64 exec, exec, s[16:17]
.LBB12_4:
	s_or_b64 exec, exec, s[10:11]
	v_and_b32_e32 v3, 63, v0
	v_cmp_gt_u32_e32 vcc, 64, v0
	v_lshlrev_b32_e32 v1, 2, v3
	s_and_saveexec_b64 s[0:1], vcc
; %bb.5:
	v_mov_b32_e32 v4, 0
	ds_write_b32 v1, v4
; %bb.6:
	s_or_b64 exec, exec, s[0:1]
	v_mbcnt_lo_u32_b32 v4, -1, 0
	v_mbcnt_hi_u32_b32 v5, -1, v4
	v_mov_b32_e32 v4, 0x80
	v_lshl_or_b32 v4, v5, 2, v4
	ds_bpermute_b32 v4, v4, v2
	v_and_b32_e32 v6, 63, v5
	v_cmp_gt_u32_e64 s[0:1], 48, v6
	v_cndmask_b32_e64 v7, 0, 16, s[0:1]
	v_cmp_gt_u32_e64 s[0:1], 56, v6
	s_waitcnt lgkmcnt(0)
	v_add_f32_e32 v2, v2, v4
	v_add_lshl_u32 v4, v7, v5, 2
	ds_bpermute_b32 v4, v4, v2
	v_cndmask_b32_e64 v7, 0, 8, s[0:1]
	v_add_lshl_u32 v7, v7, v5, 2
	v_cmp_gt_u32_e64 s[0:1], 60, v6
	s_waitcnt lgkmcnt(0)
	v_add_f32_e32 v4, v2, v4
	ds_bpermute_b32 v7, v7, v4
	v_cndmask_b32_e64 v2, 0, 4, s[0:1]
	v_add_lshl_u32 v2, v2, v5, 2
	v_cmp_gt_u32_e64 s[0:1], 62, v6
	s_waitcnt lgkmcnt(0)
	s_barrier
	v_add_f32_e32 v7, v4, v7
	ds_bpermute_b32 v8, v2, v7
	v_cndmask_b32_e64 v4, 0, 2, s[0:1]
	v_add_lshl_u32 v4, v4, v5, 2
	v_cmp_ne_u32_e64 s[0:1], 63, v6
	v_addc_co_u32_e64 v5, s[0:1], 0, v5, s[0:1]
	s_waitcnt lgkmcnt(0)
	v_add_f32_e32 v7, v7, v8
	ds_bpermute_b32 v8, v4, v7
	v_lshlrev_b32_e32 v5, 2, v5
	v_cmp_eq_u32_e64 s[0:1], 0, v3
	s_waitcnt lgkmcnt(0)
	v_add_f32_e32 v6, v7, v8
	ds_bpermute_b32 v7, v5, v6
	s_and_saveexec_b64 s[10:11], s[0:1]
	s_cbranch_execz .LBB12_8
; %bb.7:
	s_waitcnt lgkmcnt(0)
	v_add_f32_e32 v3, v6, v7
	v_lshrrev_b32_e32 v6, 4, v0
	v_and_b32_e32 v6, 28, v6
	ds_write_b32 v6, v3
.LBB12_8:
	s_or_b64 exec, exec, s[10:11]
	v_cmp_gt_u32_e64 s[0:1], 8, v0
	v_mov_b32_e32 v3, 0
	s_waitcnt lgkmcnt(0)
	s_barrier
	s_and_saveexec_b64 s[10:11], s[0:1]
; %bb.9:
	ds_read_b32 v3, v1
; %bb.10:
	s_or_b64 exec, exec, s[10:11]
	s_and_saveexec_b64 s[0:1], vcc
	s_cbranch_execz .LBB12_12
; %bb.11:
	s_waitcnt lgkmcnt(0)
	ds_bpermute_b32 v1, v2, v3
	s_waitcnt lgkmcnt(0)
	v_add_f32_e32 v1, v3, v1
	ds_bpermute_b32 v2, v4, v1
	s_waitcnt lgkmcnt(0)
	v_add_f32_e32 v1, v1, v2
	;; [unrolled: 3-line block ×3, first 2 shown]
.LBB12_12:
	s_or_b64 exec, exec, s[0:1]
	s_mov_b32 s1, 0
	v_cmp_eq_u32_e32 vcc, 0, v0
	s_and_saveexec_b64 s[10:11], vcc
	s_cbranch_execz .LBB12_14
; %bb.13:
	s_load_dwordx2 s[4:5], s[4:5], 0x30
	s_mul_i32 s0, s9, s2
	s_add_i32 s0, s0, s6
	s_lshl_b64 s[0:1], s[0:1], 2
	v_mov_b32_e32 v0, 0
	s_waitcnt lgkmcnt(0)
	s_add_u32 s0, s4, s0
	s_addc_u32 s1, s5, s1
	global_store_dword v0, v3, s[0:1]
.LBB12_14:
	s_endpgm
	.section	.rodata,"a",@progbits
	.p2align	6, 0x0
	.amdhsa_kernel _ZL30rocblas_reduction_kernel_part1IiLi512ELi4E18rocblas_fetch_nrm2IfEPKPKffEviiT3_lT_liPT4_
		.amdhsa_group_segment_fixed_size 256
		.amdhsa_private_segment_fixed_size 0
		.amdhsa_kernarg_size 312
		.amdhsa_user_sgpr_count 6
		.amdhsa_user_sgpr_private_segment_buffer 1
		.amdhsa_user_sgpr_dispatch_ptr 0
		.amdhsa_user_sgpr_queue_ptr 0
		.amdhsa_user_sgpr_kernarg_segment_ptr 1
		.amdhsa_user_sgpr_dispatch_id 0
		.amdhsa_user_sgpr_flat_scratch_init 0
		.amdhsa_user_sgpr_private_segment_size 0
		.amdhsa_uses_dynamic_stack 0
		.amdhsa_system_sgpr_private_segment_wavefront_offset 0
		.amdhsa_system_sgpr_workgroup_id_x 1
		.amdhsa_system_sgpr_workgroup_id_y 0
		.amdhsa_system_sgpr_workgroup_id_z 1
		.amdhsa_system_sgpr_workgroup_info 0
		.amdhsa_system_vgpr_workitem_id 0
		.amdhsa_next_free_vgpr 9
		.amdhsa_next_free_sgpr 22
		.amdhsa_reserve_vcc 1
		.amdhsa_reserve_flat_scratch 0
		.amdhsa_float_round_mode_32 0
		.amdhsa_float_round_mode_16_64 0
		.amdhsa_float_denorm_mode_32 3
		.amdhsa_float_denorm_mode_16_64 3
		.amdhsa_dx10_clamp 1
		.amdhsa_ieee_mode 1
		.amdhsa_fp16_overflow 0
		.amdhsa_exception_fp_ieee_invalid_op 0
		.amdhsa_exception_fp_denorm_src 0
		.amdhsa_exception_fp_ieee_div_zero 0
		.amdhsa_exception_fp_ieee_overflow 0
		.amdhsa_exception_fp_ieee_underflow 0
		.amdhsa_exception_fp_ieee_inexact 0
		.amdhsa_exception_int_div_zero 0
	.end_amdhsa_kernel
	.section	.text._ZL30rocblas_reduction_kernel_part1IiLi512ELi4E18rocblas_fetch_nrm2IfEPKPKffEviiT3_lT_liPT4_,"axG",@progbits,_ZL30rocblas_reduction_kernel_part1IiLi512ELi4E18rocblas_fetch_nrm2IfEPKPKffEviiT3_lT_liPT4_,comdat
.Lfunc_end12:
	.size	_ZL30rocblas_reduction_kernel_part1IiLi512ELi4E18rocblas_fetch_nrm2IfEPKPKffEviiT3_lT_liPT4_, .Lfunc_end12-_ZL30rocblas_reduction_kernel_part1IiLi512ELi4E18rocblas_fetch_nrm2IfEPKPKffEviiT3_lT_liPT4_
                                        ; -- End function
	.set _ZL30rocblas_reduction_kernel_part1IiLi512ELi4E18rocblas_fetch_nrm2IfEPKPKffEviiT3_lT_liPT4_.num_vgpr, 9
	.set _ZL30rocblas_reduction_kernel_part1IiLi512ELi4E18rocblas_fetch_nrm2IfEPKPKffEviiT3_lT_liPT4_.num_agpr, 0
	.set _ZL30rocblas_reduction_kernel_part1IiLi512ELi4E18rocblas_fetch_nrm2IfEPKPKffEviiT3_lT_liPT4_.numbered_sgpr, 22
	.set _ZL30rocblas_reduction_kernel_part1IiLi512ELi4E18rocblas_fetch_nrm2IfEPKPKffEviiT3_lT_liPT4_.num_named_barrier, 0
	.set _ZL30rocblas_reduction_kernel_part1IiLi512ELi4E18rocblas_fetch_nrm2IfEPKPKffEviiT3_lT_liPT4_.private_seg_size, 0
	.set _ZL30rocblas_reduction_kernel_part1IiLi512ELi4E18rocblas_fetch_nrm2IfEPKPKffEviiT3_lT_liPT4_.uses_vcc, 1
	.set _ZL30rocblas_reduction_kernel_part1IiLi512ELi4E18rocblas_fetch_nrm2IfEPKPKffEviiT3_lT_liPT4_.uses_flat_scratch, 0
	.set _ZL30rocblas_reduction_kernel_part1IiLi512ELi4E18rocblas_fetch_nrm2IfEPKPKffEviiT3_lT_liPT4_.has_dyn_sized_stack, 0
	.set _ZL30rocblas_reduction_kernel_part1IiLi512ELi4E18rocblas_fetch_nrm2IfEPKPKffEviiT3_lT_liPT4_.has_recursion, 0
	.set _ZL30rocblas_reduction_kernel_part1IiLi512ELi4E18rocblas_fetch_nrm2IfEPKPKffEviiT3_lT_liPT4_.has_indirect_call, 0
	.section	.AMDGPU.csdata,"",@progbits
; Kernel info:
; codeLenInByte = 792
; TotalNumSgprs: 26
; NumVgprs: 9
; ScratchSize: 0
; MemoryBound: 0
; FloatMode: 240
; IeeeMode: 1
; LDSByteSize: 256 bytes/workgroup (compile time only)
; SGPRBlocks: 3
; VGPRBlocks: 2
; NumSGPRsForWavesPerEU: 26
; NumVGPRsForWavesPerEU: 9
; Occupancy: 10
; WaveLimiterHint : 0
; COMPUTE_PGM_RSRC2:SCRATCH_EN: 0
; COMPUTE_PGM_RSRC2:USER_SGPR: 6
; COMPUTE_PGM_RSRC2:TRAP_HANDLER: 0
; COMPUTE_PGM_RSRC2:TGID_X_EN: 1
; COMPUTE_PGM_RSRC2:TGID_Y_EN: 0
; COMPUTE_PGM_RSRC2:TGID_Z_EN: 1
; COMPUTE_PGM_RSRC2:TIDIG_COMP_CNT: 0
	.section	.text._ZL30rocblas_reduction_kernel_part1IiLi512ELi2E18rocblas_fetch_nrm2IdEPKddEviiT3_lT_liPT4_,"axG",@progbits,_ZL30rocblas_reduction_kernel_part1IiLi512ELi2E18rocblas_fetch_nrm2IdEPKddEviiT3_lT_liPT4_,comdat
	.globl	_ZL30rocblas_reduction_kernel_part1IiLi512ELi2E18rocblas_fetch_nrm2IdEPKddEviiT3_lT_liPT4_ ; -- Begin function _ZL30rocblas_reduction_kernel_part1IiLi512ELi2E18rocblas_fetch_nrm2IdEPKddEviiT3_lT_liPT4_
	.p2align	8
	.type	_ZL30rocblas_reduction_kernel_part1IiLi512ELi2E18rocblas_fetch_nrm2IdEPKddEviiT3_lT_liPT4_,@function
_ZL30rocblas_reduction_kernel_part1IiLi512ELi2E18rocblas_fetch_nrm2IdEPKddEviiT3_lT_liPT4_: ; @_ZL30rocblas_reduction_kernel_part1IiLi512ELi2E18rocblas_fetch_nrm2IdEPKddEviiT3_lT_liPT4_
; %bb.0:
	s_load_dwordx2 s[2:3], s[4:5], 0x0
	v_lshl_or_b32 v3, s6, 9, v0
	v_mov_b32_e32 v4, 0
	v_mov_b32_e32 v1, 0
	;; [unrolled: 1-line block ×3, first 2 shown]
	s_waitcnt lgkmcnt(0)
	s_ashr_i32 s9, s2, 31
	s_mov_b32 s8, s2
	v_cmp_gt_i64_e32 vcc, s[8:9], v[3:4]
	s_and_saveexec_b64 s[0:1], vcc
	s_cbranch_execz .LBB13_4
; %bb.1:
	s_load_dword s2, s[4:5], 0x18
	s_load_dwordx2 s[16:17], s[4:5], 0x20
	s_load_dwordx4 s[12:15], s[4:5], 0x8
	s_load_dword s20, s[4:5], 0x38
	s_waitcnt lgkmcnt(0)
	v_mad_u64_u32 v[1:2], s[18:19], v3, s2, 0
	s_mul_i32 s11, s17, s7
	s_mul_hi_u32 s17, s16, s7
	s_add_i32 s17, s17, s11
	s_mul_i32 s16, s16, s7
	s_ashr_i32 s10, s2, 31
	s_lshl_b64 s[16:17], s[16:17], 3
	s_add_u32 s11, s12, s16
	s_addc_u32 s16, s13, s17
	v_mad_u64_u32 v[4:5], s[12:13], v3, s10, v[2:3]
	s_lshl_b64 s[12:13], s[14:15], 3
	s_add_u32 s11, s11, s12
	v_mov_b32_e32 v2, v4
	v_lshlrev_b64 v[1:2], 3, v[1:2]
	s_addc_u32 s12, s16, s13
	v_mov_b32_e32 v4, s12
	v_add_co_u32_e32 v1, vcc, s11, v1
	v_addc_co_u32_e32 v2, vcc, v4, v2, vcc
	global_load_dwordx2 v[1:2], v[1:2], off
	s_lshl_b32 s13, s20, 9
	s_ashr_i32 s14, s13, 31
	v_mov_b32_e32 v4, s14
	v_add_co_u32_e32 v3, vcc, s13, v3
	v_addc_co_u32_e32 v4, vcc, 0, v4, vcc
	v_cmp_gt_i64_e32 vcc, s[8:9], v[3:4]
	s_waitcnt vmcnt(0)
	v_mul_f64 v[1:2], v[1:2], v[1:2]
	s_and_saveexec_b64 s[8:9], vcc
	s_cbranch_execz .LBB13_3
; %bb.2:
	v_mul_lo_u32 v5, v4, s2
	v_mul_lo_u32 v6, v3, s10
	v_mad_u64_u32 v[3:4], s[14:15], v3, s2, 0
	v_add3_u32 v4, v4, v6, v5
	v_lshlrev_b64 v[3:4], 3, v[3:4]
	v_mov_b32_e32 v5, s12
	v_add_co_u32_e32 v3, vcc, s11, v3
	v_addc_co_u32_e32 v4, vcc, v5, v4, vcc
	global_load_dwordx2 v[3:4], v[3:4], off
	s_waitcnt vmcnt(0)
	v_fma_f64 v[1:2], v[3:4], v[3:4], v[1:2]
.LBB13_3:
	s_or_b64 exec, exec, s[8:9]
.LBB13_4:
	s_or_b64 exec, exec, s[0:1]
	v_and_b32_e32 v6, 63, v0
	v_cmp_gt_u32_e32 vcc, 64, v0
	v_lshlrev_b32_e32 v5, 3, v6
	s_and_saveexec_b64 s[0:1], vcc
; %bb.5:
	v_mov_b32_e32 v3, 0
	v_mov_b32_e32 v4, v3
	ds_write_b64 v5, v[3:4]
; %bb.6:
	s_or_b64 exec, exec, s[0:1]
	v_mbcnt_lo_u32_b32 v3, -1, 0
	v_mbcnt_hi_u32_b32 v9, -1, v3
	v_mov_b32_e32 v3, 0x80
	v_lshl_or_b32 v4, v9, 2, v3
	ds_bpermute_b32 v3, v4, v1
	ds_bpermute_b32 v4, v4, v2
	v_and_b32_e32 v10, 63, v9
	v_cmp_gt_u32_e64 s[0:1], 48, v10
	s_waitcnt lgkmcnt(0)
	s_barrier
	v_add_f64 v[1:2], v[1:2], v[3:4]
	v_cndmask_b32_e64 v3, 0, 16, s[0:1]
	v_add_lshl_u32 v4, v3, v9, 2
	v_cmp_gt_u32_e64 s[0:1], 56, v10
	ds_bpermute_b32 v3, v4, v1
	ds_bpermute_b32 v4, v4, v2
	s_waitcnt lgkmcnt(0)
	v_add_f64 v[1:2], v[1:2], v[3:4]
	v_cndmask_b32_e64 v3, 0, 8, s[0:1]
	v_add_lshl_u32 v4, v3, v9, 2
	v_cmp_gt_u32_e64 s[0:1], 60, v10
	ds_bpermute_b32 v3, v4, v1
	ds_bpermute_b32 v4, v4, v2
	s_waitcnt lgkmcnt(0)
	;; [unrolled: 7-line block ×3, first 2 shown]
	v_add_f64 v[1:2], v[1:2], v[3:4]
	v_cndmask_b32_e64 v3, 0, 2, s[0:1]
	v_add_lshl_u32 v8, v3, v9, 2
	v_cmp_ne_u32_e64 s[0:1], 63, v10
	ds_bpermute_b32 v3, v8, v1
	ds_bpermute_b32 v4, v8, v2
	s_waitcnt lgkmcnt(0)
	v_add_f64 v[1:2], v[1:2], v[3:4]
	v_addc_co_u32_e64 v3, s[0:1], 0, v9, s[0:1]
	v_lshlrev_b32_e32 v9, 2, v3
	v_cmp_eq_u32_e64 s[0:1], 0, v6
	ds_bpermute_b32 v3, v9, v1
	ds_bpermute_b32 v4, v9, v2
	s_and_saveexec_b64 s[8:9], s[0:1]
	s_cbranch_execz .LBB13_8
; %bb.7:
	s_waitcnt lgkmcnt(0)
	v_add_f64 v[1:2], v[1:2], v[3:4]
	v_lshrrev_b32_e32 v3, 3, v0
	v_and_b32_e32 v3, 56, v3
	ds_write_b64 v3, v[1:2]
.LBB13_8:
	s_or_b64 exec, exec, s[8:9]
	v_mov_b32_e32 v1, 0
	v_mov_b32_e32 v2, 0
	v_cmp_gt_u32_e64 s[0:1], 8, v0
	s_waitcnt lgkmcnt(0)
	s_barrier
	s_and_saveexec_b64 s[8:9], s[0:1]
; %bb.9:
	ds_read_b64 v[1:2], v5
; %bb.10:
	s_or_b64 exec, exec, s[8:9]
	s_and_saveexec_b64 s[0:1], vcc
	s_cbranch_execz .LBB13_12
; %bb.11:
	s_waitcnt lgkmcnt(0)
	ds_bpermute_b32 v3, v7, v1
	ds_bpermute_b32 v4, v7, v2
	s_waitcnt lgkmcnt(0)
	v_add_f64 v[1:2], v[1:2], v[3:4]
	ds_bpermute_b32 v3, v8, v1
	ds_bpermute_b32 v4, v8, v2
	s_waitcnt lgkmcnt(0)
	v_add_f64 v[1:2], v[1:2], v[3:4]
	;; [unrolled: 4-line block ×3, first 2 shown]
.LBB13_12:
	s_or_b64 exec, exec, s[0:1]
	s_mov_b32 s1, 0
	v_cmp_eq_u32_e32 vcc, 0, v0
	s_and_saveexec_b64 s[8:9], vcc
	s_cbranch_execz .LBB13_14
; %bb.13:
	s_load_dwordx2 s[4:5], s[4:5], 0x30
	s_mul_i32 s0, s3, s7
	s_add_i32 s0, s0, s6
	s_lshl_b64 s[0:1], s[0:1], 3
	v_mov_b32_e32 v0, 0
	s_waitcnt lgkmcnt(0)
	s_add_u32 s0, s4, s0
	s_addc_u32 s1, s5, s1
	global_store_dwordx2 v0, v[1:2], s[0:1]
.LBB13_14:
	s_endpgm
	.section	.rodata,"a",@progbits
	.p2align	6, 0x0
	.amdhsa_kernel _ZL30rocblas_reduction_kernel_part1IiLi512ELi2E18rocblas_fetch_nrm2IdEPKddEviiT3_lT_liPT4_
		.amdhsa_group_segment_fixed_size 512
		.amdhsa_private_segment_fixed_size 0
		.amdhsa_kernarg_size 312
		.amdhsa_user_sgpr_count 6
		.amdhsa_user_sgpr_private_segment_buffer 1
		.amdhsa_user_sgpr_dispatch_ptr 0
		.amdhsa_user_sgpr_queue_ptr 0
		.amdhsa_user_sgpr_kernarg_segment_ptr 1
		.amdhsa_user_sgpr_dispatch_id 0
		.amdhsa_user_sgpr_flat_scratch_init 0
		.amdhsa_user_sgpr_private_segment_size 0
		.amdhsa_uses_dynamic_stack 0
		.amdhsa_system_sgpr_private_segment_wavefront_offset 0
		.amdhsa_system_sgpr_workgroup_id_x 1
		.amdhsa_system_sgpr_workgroup_id_y 0
		.amdhsa_system_sgpr_workgroup_id_z 1
		.amdhsa_system_sgpr_workgroup_info 0
		.amdhsa_system_vgpr_workitem_id 0
		.amdhsa_next_free_vgpr 11
		.amdhsa_next_free_sgpr 21
		.amdhsa_reserve_vcc 1
		.amdhsa_reserve_flat_scratch 0
		.amdhsa_float_round_mode_32 0
		.amdhsa_float_round_mode_16_64 0
		.amdhsa_float_denorm_mode_32 3
		.amdhsa_float_denorm_mode_16_64 3
		.amdhsa_dx10_clamp 1
		.amdhsa_ieee_mode 1
		.amdhsa_fp16_overflow 0
		.amdhsa_exception_fp_ieee_invalid_op 0
		.amdhsa_exception_fp_denorm_src 0
		.amdhsa_exception_fp_ieee_div_zero 0
		.amdhsa_exception_fp_ieee_overflow 0
		.amdhsa_exception_fp_ieee_underflow 0
		.amdhsa_exception_fp_ieee_inexact 0
		.amdhsa_exception_int_div_zero 0
	.end_amdhsa_kernel
	.section	.text._ZL30rocblas_reduction_kernel_part1IiLi512ELi2E18rocblas_fetch_nrm2IdEPKddEviiT3_lT_liPT4_,"axG",@progbits,_ZL30rocblas_reduction_kernel_part1IiLi512ELi2E18rocblas_fetch_nrm2IdEPKddEviiT3_lT_liPT4_,comdat
.Lfunc_end13:
	.size	_ZL30rocblas_reduction_kernel_part1IiLi512ELi2E18rocblas_fetch_nrm2IdEPKddEviiT3_lT_liPT4_, .Lfunc_end13-_ZL30rocblas_reduction_kernel_part1IiLi512ELi2E18rocblas_fetch_nrm2IdEPKddEviiT3_lT_liPT4_
                                        ; -- End function
	.set _ZL30rocblas_reduction_kernel_part1IiLi512ELi2E18rocblas_fetch_nrm2IdEPKddEviiT3_lT_liPT4_.num_vgpr, 11
	.set _ZL30rocblas_reduction_kernel_part1IiLi512ELi2E18rocblas_fetch_nrm2IdEPKddEviiT3_lT_liPT4_.num_agpr, 0
	.set _ZL30rocblas_reduction_kernel_part1IiLi512ELi2E18rocblas_fetch_nrm2IdEPKddEviiT3_lT_liPT4_.numbered_sgpr, 21
	.set _ZL30rocblas_reduction_kernel_part1IiLi512ELi2E18rocblas_fetch_nrm2IdEPKddEviiT3_lT_liPT4_.num_named_barrier, 0
	.set _ZL30rocblas_reduction_kernel_part1IiLi512ELi2E18rocblas_fetch_nrm2IdEPKddEviiT3_lT_liPT4_.private_seg_size, 0
	.set _ZL30rocblas_reduction_kernel_part1IiLi512ELi2E18rocblas_fetch_nrm2IdEPKddEviiT3_lT_liPT4_.uses_vcc, 1
	.set _ZL30rocblas_reduction_kernel_part1IiLi512ELi2E18rocblas_fetch_nrm2IdEPKddEviiT3_lT_liPT4_.uses_flat_scratch, 0
	.set _ZL30rocblas_reduction_kernel_part1IiLi512ELi2E18rocblas_fetch_nrm2IdEPKddEviiT3_lT_liPT4_.has_dyn_sized_stack, 0
	.set _ZL30rocblas_reduction_kernel_part1IiLi512ELi2E18rocblas_fetch_nrm2IdEPKddEviiT3_lT_liPT4_.has_recursion, 0
	.set _ZL30rocblas_reduction_kernel_part1IiLi512ELi2E18rocblas_fetch_nrm2IdEPKddEviiT3_lT_liPT4_.has_indirect_call, 0
	.section	.AMDGPU.csdata,"",@progbits
; Kernel info:
; codeLenInByte = 904
; TotalNumSgprs: 25
; NumVgprs: 11
; ScratchSize: 0
; MemoryBound: 0
; FloatMode: 240
; IeeeMode: 1
; LDSByteSize: 512 bytes/workgroup (compile time only)
; SGPRBlocks: 3
; VGPRBlocks: 2
; NumSGPRsForWavesPerEU: 25
; NumVGPRsForWavesPerEU: 11
; Occupancy: 10
; WaveLimiterHint : 0
; COMPUTE_PGM_RSRC2:SCRATCH_EN: 0
; COMPUTE_PGM_RSRC2:USER_SGPR: 6
; COMPUTE_PGM_RSRC2:TRAP_HANDLER: 0
; COMPUTE_PGM_RSRC2:TGID_X_EN: 1
; COMPUTE_PGM_RSRC2:TGID_Y_EN: 0
; COMPUTE_PGM_RSRC2:TGID_Z_EN: 1
; COMPUTE_PGM_RSRC2:TIDIG_COMP_CNT: 0
	.section	.text._ZL30rocblas_reduction_kernel_part2ILi512ELi2E21rocblas_finalize_nrm2ddEviPT2_PT3_,"axG",@progbits,_ZL30rocblas_reduction_kernel_part2ILi512ELi2E21rocblas_finalize_nrm2ddEviPT2_PT3_,comdat
	.globl	_ZL30rocblas_reduction_kernel_part2ILi512ELi2E21rocblas_finalize_nrm2ddEviPT2_PT3_ ; -- Begin function _ZL30rocblas_reduction_kernel_part2ILi512ELi2E21rocblas_finalize_nrm2ddEviPT2_PT3_
	.p2align	8
	.type	_ZL30rocblas_reduction_kernel_part2ILi512ELi2E21rocblas_finalize_nrm2ddEviPT2_PT3_,@function
_ZL30rocblas_reduction_kernel_part2ILi512ELi2E21rocblas_finalize_nrm2ddEviPT2_PT3_: ; @_ZL30rocblas_reduction_kernel_part2ILi512ELi2E21rocblas_finalize_nrm2ddEviPT2_PT3_
; %bb.0:
	s_load_dword s14, s[4:5], 0x0
	s_load_dwordx4 s[8:11], s[4:5], 0x8
	v_lshlrev_b32_e32 v5, 1, v0
	v_mov_b32_e32 v1, 0
	s_mov_b32 s7, 0
	s_waitcnt lgkmcnt(0)
	s_ashr_i32 s0, s14, 31
	s_mul_hi_u32 s1, s14, s6
	s_mul_i32 s0, s0, s6
	s_add_i32 s3, s1, s0
	s_lshr_b32 s0, s14, 31
	s_add_i32 s0, s14, s0
	s_and_b32 s15, s0, -2
	s_mul_i32 s2, s14, s6
	v_mov_b32_e32 v2, 0
	v_cmp_gt_i32_e32 vcc, s15, v5
	s_and_saveexec_b64 s[4:5], vcc
	s_cbranch_execz .LBB14_4
; %bb.1:
	s_lshl_b64 s[0:1], s[2:3], 3
	s_add_u32 s0, s8, s0
	v_lshlrev_b32_e32 v1, 4, v0
	s_addc_u32 s1, s9, s1
	v_mov_b32_e32 v2, s1
	v_add_co_u32_e32 v1, vcc, s0, v1
	v_addc_co_u32_e32 v2, vcc, 0, v2, vcc
	v_add_co_u32_e32 v3, vcc, 8, v1
	v_addc_co_u32_e32 v4, vcc, 0, v2, vcc
	v_mov_b32_e32 v1, 0
	v_mov_b32_e32 v2, 0
	s_mov_b64 s[12:13], 0
.LBB14_2:                               ; =>This Inner Loop Header: Depth=1
	global_load_dwordx4 v[6:9], v[3:4], off offset:-8
	v_add_u32_e32 v5, 0x400, v5
	v_add_co_u32_e32 v3, vcc, 0x2000, v3
	v_cmp_le_i32_e64 s[0:1], s15, v5
	s_or_b64 s[12:13], s[0:1], s[12:13]
	v_addc_co_u32_e32 v4, vcc, 0, v4, vcc
	s_waitcnt vmcnt(0)
	v_add_f64 v[1:2], v[1:2], v[6:7]
	v_add_f64 v[1:2], v[1:2], v[8:9]
	s_andn2_b64 exec, exec, s[12:13]
	s_cbranch_execnz .LBB14_2
; %bb.3:
	s_or_b64 exec, exec, s[12:13]
.LBB14_4:
	s_or_b64 exec, exec, s[4:5]
	s_sub_i32 s0, s14, s15
	v_cmp_gt_u32_e32 vcc, s0, v0
	s_and_saveexec_b64 s[0:1], vcc
	s_cbranch_execz .LBB14_6
; %bb.5:
	s_lshl_b64 s[2:3], s[2:3], 3
	v_xad_u32 v3, v0, -1, s14
	v_mov_b32_e32 v4, 0
	s_add_u32 s2, s8, s2
	v_lshlrev_b64 v[3:4], 3, v[3:4]
	s_addc_u32 s3, s9, s3
	v_mov_b32_e32 v5, s3
	v_add_co_u32_e32 v3, vcc, s2, v3
	v_addc_co_u32_e32 v4, vcc, v5, v4, vcc
	global_load_dwordx2 v[3:4], v[3:4], off
	s_waitcnt vmcnt(0)
	v_add_f64 v[1:2], v[1:2], v[3:4]
.LBB14_6:
	s_or_b64 exec, exec, s[0:1]
	v_and_b32_e32 v6, 63, v0
	v_cmp_gt_u32_e32 vcc, 64, v0
	v_lshlrev_b32_e32 v5, 3, v6
	s_and_saveexec_b64 s[0:1], vcc
; %bb.7:
	v_mov_b32_e32 v3, 0
	v_mov_b32_e32 v4, v3
	ds_write_b64 v5, v[3:4]
; %bb.8:
	s_or_b64 exec, exec, s[0:1]
	v_mbcnt_lo_u32_b32 v3, -1, 0
	v_mbcnt_hi_u32_b32 v9, -1, v3
	v_mov_b32_e32 v3, 0x80
	v_lshl_or_b32 v4, v9, 2, v3
	ds_bpermute_b32 v3, v4, v1
	ds_bpermute_b32 v4, v4, v2
	v_and_b32_e32 v10, 63, v9
	v_cmp_gt_u32_e64 s[0:1], 48, v10
	s_waitcnt lgkmcnt(0)
	s_barrier
	v_add_f64 v[1:2], v[1:2], v[3:4]
	v_cndmask_b32_e64 v3, 0, 16, s[0:1]
	v_add_lshl_u32 v4, v3, v9, 2
	v_cmp_gt_u32_e64 s[0:1], 56, v10
	ds_bpermute_b32 v3, v4, v1
	ds_bpermute_b32 v4, v4, v2
	s_waitcnt lgkmcnt(0)
	v_add_f64 v[1:2], v[1:2], v[3:4]
	v_cndmask_b32_e64 v3, 0, 8, s[0:1]
	v_add_lshl_u32 v4, v3, v9, 2
	v_cmp_gt_u32_e64 s[0:1], 60, v10
	ds_bpermute_b32 v3, v4, v1
	ds_bpermute_b32 v4, v4, v2
	s_waitcnt lgkmcnt(0)
	v_add_f64 v[1:2], v[1:2], v[3:4]
	v_cndmask_b32_e64 v3, 0, 4, s[0:1]
	v_add_lshl_u32 v7, v3, v9, 2
	v_cmp_gt_u32_e64 s[0:1], 62, v10
	ds_bpermute_b32 v3, v7, v1
	ds_bpermute_b32 v4, v7, v2
	s_waitcnt lgkmcnt(0)
	v_add_f64 v[1:2], v[1:2], v[3:4]
	v_cndmask_b32_e64 v3, 0, 2, s[0:1]
	v_add_lshl_u32 v8, v3, v9, 2
	v_cmp_ne_u32_e64 s[0:1], 63, v10
	ds_bpermute_b32 v3, v8, v1
	ds_bpermute_b32 v4, v8, v2
	s_waitcnt lgkmcnt(0)
	v_add_f64 v[1:2], v[1:2], v[3:4]
	v_addc_co_u32_e64 v3, s[0:1], 0, v9, s[0:1]
	v_lshlrev_b32_e32 v9, 2, v3
	v_cmp_eq_u32_e64 s[0:1], 0, v6
	ds_bpermute_b32 v3, v9, v1
	ds_bpermute_b32 v4, v9, v2
	s_and_saveexec_b64 s[2:3], s[0:1]
	s_cbranch_execz .LBB14_10
; %bb.9:
	s_waitcnt lgkmcnt(0)
	v_add_f64 v[1:2], v[1:2], v[3:4]
	v_lshrrev_b32_e32 v3, 3, v0
	v_and_b32_e32 v3, 56, v3
	ds_write_b64 v3, v[1:2]
.LBB14_10:
	s_or_b64 exec, exec, s[2:3]
	v_mov_b32_e32 v1, 0
	v_mov_b32_e32 v2, 0
	v_cmp_gt_u32_e64 s[0:1], 8, v0
	s_waitcnt lgkmcnt(0)
	s_barrier
	s_and_saveexec_b64 s[2:3], s[0:1]
	s_cbranch_execnz .LBB14_14
; %bb.11:
	s_or_b64 exec, exec, s[2:3]
	s_and_saveexec_b64 s[0:1], vcc
	s_cbranch_execnz .LBB14_15
.LBB14_12:
	s_or_b64 exec, exec, s[0:1]
	v_cmp_eq_u32_e32 vcc, 0, v0
	s_and_saveexec_b64 s[0:1], vcc
	s_cbranch_execnz .LBB14_16
.LBB14_13:
	s_endpgm
.LBB14_14:
	ds_read_b64 v[1:2], v5
	s_or_b64 exec, exec, s[2:3]
	s_and_saveexec_b64 s[0:1], vcc
	s_cbranch_execz .LBB14_12
.LBB14_15:
	s_waitcnt lgkmcnt(0)
	ds_bpermute_b32 v3, v7, v1
	ds_bpermute_b32 v4, v7, v2
	s_waitcnt lgkmcnt(0)
	v_add_f64 v[1:2], v[1:2], v[3:4]
	ds_bpermute_b32 v3, v8, v1
	ds_bpermute_b32 v4, v8, v2
	s_waitcnt lgkmcnt(0)
	v_add_f64 v[1:2], v[1:2], v[3:4]
	ds_bpermute_b32 v3, v9, v1
	ds_bpermute_b32 v4, v9, v2
	s_waitcnt lgkmcnt(0)
	v_add_f64 v[1:2], v[1:2], v[3:4]
	s_or_b64 exec, exec, s[0:1]
	v_cmp_eq_u32_e32 vcc, 0, v0
	s_and_saveexec_b64 s[0:1], vcc
	s_cbranch_execz .LBB14_13
.LBB14_16:
	s_mov_b32 s0, 0
	s_brev_b32 s1, 8
	s_waitcnt lgkmcnt(0)
	v_cmp_gt_f64_e32 vcc, s[0:1], v[1:2]
	v_mov_b32_e32 v0, 0x100
	s_lshl_b64 s[0:1], s[6:7], 3
	s_add_u32 s0, s10, s0
	s_addc_u32 s1, s11, s1
	v_cndmask_b32_e32 v0, 0, v0, vcc
	v_ldexp_f64 v[0:1], v[1:2], v0
	v_rsq_f64_e32 v[2:3], v[0:1]
	v_mul_f64 v[4:5], v[0:1], v[2:3]
	v_mul_f64 v[2:3], v[2:3], 0.5
	v_fma_f64 v[6:7], -v[2:3], v[4:5], 0.5
	v_fma_f64 v[4:5], v[4:5], v[6:7], v[4:5]
	v_fma_f64 v[2:3], v[2:3], v[6:7], v[2:3]
	v_fma_f64 v[6:7], -v[4:5], v[4:5], v[0:1]
	v_fma_f64 v[4:5], v[6:7], v[2:3], v[4:5]
	v_fma_f64 v[6:7], -v[4:5], v[4:5], v[0:1]
	v_fma_f64 v[2:3], v[6:7], v[2:3], v[4:5]
	v_mov_b32_e32 v4, 0xffffff80
	v_mov_b32_e32 v5, 0x260
	v_cndmask_b32_e32 v4, 0, v4, vcc
	v_cmp_class_f64_e32 vcc, v[0:1], v5
	v_ldexp_f64 v[2:3], v[2:3], v4
	v_mov_b32_e32 v4, 0
	v_cndmask_b32_e32 v1, v3, v1, vcc
	v_cndmask_b32_e32 v0, v2, v0, vcc
	global_store_dwordx2 v4, v[0:1], s[0:1]
	s_endpgm
	.section	.rodata,"a",@progbits
	.p2align	6, 0x0
	.amdhsa_kernel _ZL30rocblas_reduction_kernel_part2ILi512ELi2E21rocblas_finalize_nrm2ddEviPT2_PT3_
		.amdhsa_group_segment_fixed_size 512
		.amdhsa_private_segment_fixed_size 0
		.amdhsa_kernarg_size 24
		.amdhsa_user_sgpr_count 6
		.amdhsa_user_sgpr_private_segment_buffer 1
		.amdhsa_user_sgpr_dispatch_ptr 0
		.amdhsa_user_sgpr_queue_ptr 0
		.amdhsa_user_sgpr_kernarg_segment_ptr 1
		.amdhsa_user_sgpr_dispatch_id 0
		.amdhsa_user_sgpr_flat_scratch_init 0
		.amdhsa_user_sgpr_private_segment_size 0
		.amdhsa_uses_dynamic_stack 0
		.amdhsa_system_sgpr_private_segment_wavefront_offset 0
		.amdhsa_system_sgpr_workgroup_id_x 1
		.amdhsa_system_sgpr_workgroup_id_y 0
		.amdhsa_system_sgpr_workgroup_id_z 0
		.amdhsa_system_sgpr_workgroup_info 0
		.amdhsa_system_vgpr_workitem_id 0
		.amdhsa_next_free_vgpr 11
		.amdhsa_next_free_sgpr 16
		.amdhsa_reserve_vcc 1
		.amdhsa_reserve_flat_scratch 0
		.amdhsa_float_round_mode_32 0
		.amdhsa_float_round_mode_16_64 0
		.amdhsa_float_denorm_mode_32 3
		.amdhsa_float_denorm_mode_16_64 3
		.amdhsa_dx10_clamp 1
		.amdhsa_ieee_mode 1
		.amdhsa_fp16_overflow 0
		.amdhsa_exception_fp_ieee_invalid_op 0
		.amdhsa_exception_fp_denorm_src 0
		.amdhsa_exception_fp_ieee_div_zero 0
		.amdhsa_exception_fp_ieee_overflow 0
		.amdhsa_exception_fp_ieee_underflow 0
		.amdhsa_exception_fp_ieee_inexact 0
		.amdhsa_exception_int_div_zero 0
	.end_amdhsa_kernel
	.section	.text._ZL30rocblas_reduction_kernel_part2ILi512ELi2E21rocblas_finalize_nrm2ddEviPT2_PT3_,"axG",@progbits,_ZL30rocblas_reduction_kernel_part2ILi512ELi2E21rocblas_finalize_nrm2ddEviPT2_PT3_,comdat
.Lfunc_end14:
	.size	_ZL30rocblas_reduction_kernel_part2ILi512ELi2E21rocblas_finalize_nrm2ddEviPT2_PT3_, .Lfunc_end14-_ZL30rocblas_reduction_kernel_part2ILi512ELi2E21rocblas_finalize_nrm2ddEviPT2_PT3_
                                        ; -- End function
	.set _ZL30rocblas_reduction_kernel_part2ILi512ELi2E21rocblas_finalize_nrm2ddEviPT2_PT3_.num_vgpr, 11
	.set _ZL30rocblas_reduction_kernel_part2ILi512ELi2E21rocblas_finalize_nrm2ddEviPT2_PT3_.num_agpr, 0
	.set _ZL30rocblas_reduction_kernel_part2ILi512ELi2E21rocblas_finalize_nrm2ddEviPT2_PT3_.numbered_sgpr, 16
	.set _ZL30rocblas_reduction_kernel_part2ILi512ELi2E21rocblas_finalize_nrm2ddEviPT2_PT3_.num_named_barrier, 0
	.set _ZL30rocblas_reduction_kernel_part2ILi512ELi2E21rocblas_finalize_nrm2ddEviPT2_PT3_.private_seg_size, 0
	.set _ZL30rocblas_reduction_kernel_part2ILi512ELi2E21rocblas_finalize_nrm2ddEviPT2_PT3_.uses_vcc, 1
	.set _ZL30rocblas_reduction_kernel_part2ILi512ELi2E21rocblas_finalize_nrm2ddEviPT2_PT3_.uses_flat_scratch, 0
	.set _ZL30rocblas_reduction_kernel_part2ILi512ELi2E21rocblas_finalize_nrm2ddEviPT2_PT3_.has_dyn_sized_stack, 0
	.set _ZL30rocblas_reduction_kernel_part2ILi512ELi2E21rocblas_finalize_nrm2ddEviPT2_PT3_.has_recursion, 0
	.set _ZL30rocblas_reduction_kernel_part2ILi512ELi2E21rocblas_finalize_nrm2ddEviPT2_PT3_.has_indirect_call, 0
	.section	.AMDGPU.csdata,"",@progbits
; Kernel info:
; codeLenInByte = 1052
; TotalNumSgprs: 20
; NumVgprs: 11
; ScratchSize: 0
; MemoryBound: 0
; FloatMode: 240
; IeeeMode: 1
; LDSByteSize: 512 bytes/workgroup (compile time only)
; SGPRBlocks: 2
; VGPRBlocks: 2
; NumSGPRsForWavesPerEU: 20
; NumVGPRsForWavesPerEU: 11
; Occupancy: 10
; WaveLimiterHint : 0
; COMPUTE_PGM_RSRC2:SCRATCH_EN: 0
; COMPUTE_PGM_RSRC2:USER_SGPR: 6
; COMPUTE_PGM_RSRC2:TRAP_HANDLER: 0
; COMPUTE_PGM_RSRC2:TGID_X_EN: 1
; COMPUTE_PGM_RSRC2:TGID_Y_EN: 0
; COMPUTE_PGM_RSRC2:TGID_Z_EN: 0
; COMPUTE_PGM_RSRC2:TIDIG_COMP_CNT: 0
	.section	.text._ZL30rocblas_reduction_kernel_part1IiLi512ELi2E18rocblas_fetch_nrm2IdEPKPKddEviiT3_lT_liPT4_,"axG",@progbits,_ZL30rocblas_reduction_kernel_part1IiLi512ELi2E18rocblas_fetch_nrm2IdEPKPKddEviiT3_lT_liPT4_,comdat
	.globl	_ZL30rocblas_reduction_kernel_part1IiLi512ELi2E18rocblas_fetch_nrm2IdEPKPKddEviiT3_lT_liPT4_ ; -- Begin function _ZL30rocblas_reduction_kernel_part1IiLi512ELi2E18rocblas_fetch_nrm2IdEPKPKddEviiT3_lT_liPT4_
	.p2align	8
	.type	_ZL30rocblas_reduction_kernel_part1IiLi512ELi2E18rocblas_fetch_nrm2IdEPKPKddEviiT3_lT_liPT4_,@function
_ZL30rocblas_reduction_kernel_part1IiLi512ELi2E18rocblas_fetch_nrm2IdEPKPKddEviiT3_lT_liPT4_: ; @_ZL30rocblas_reduction_kernel_part1IiLi512ELi2E18rocblas_fetch_nrm2IdEPKPKddEviiT3_lT_liPT4_
; %bb.0:
	s_load_dwordx2 s[8:9], s[4:5], 0x0
	v_lshl_or_b32 v3, s6, 9, v0
	v_mov_b32_e32 v4, 0
	v_mov_b32_e32 v1, 0
	s_mov_b32 s2, s7
	s_waitcnt lgkmcnt(0)
	s_ashr_i32 s11, s8, 31
	s_mov_b32 s10, s8
	v_cmp_gt_i64_e32 vcc, s[10:11], v[3:4]
	v_mov_b32_e32 v2, 0
	s_and_saveexec_b64 s[0:1], vcc
	s_cbranch_execz .LBB15_4
; %bb.1:
	s_load_dword s7, s[4:5], 0x18
	s_load_dwordx4 s[12:15], s[4:5], 0x8
	s_load_dword s20, s[4:5], 0x38
	s_mov_b32 s3, 0
	s_lshl_b64 s[16:17], s[2:3], 3
	s_waitcnt lgkmcnt(0)
	v_mad_u64_u32 v[1:2], s[18:19], v3, s7, 0
	s_ashr_i32 s3, s7, 31
	s_add_u32 s12, s12, s16
	s_addc_u32 s13, s13, s17
	s_load_dwordx2 s[12:13], s[12:13], 0x0
	v_mad_u64_u32 v[4:5], s[16:17], v3, s3, v[2:3]
	s_lshl_b64 s[14:15], s[14:15], 3
	v_mov_b32_e32 v2, v4
	s_waitcnt lgkmcnt(0)
	s_add_u32 s8, s12, s14
	v_lshlrev_b64 v[1:2], 3, v[1:2]
	s_addc_u32 s12, s13, s15
	v_mov_b32_e32 v4, s12
	v_add_co_u32_e32 v1, vcc, s8, v1
	v_addc_co_u32_e32 v2, vcc, v4, v2, vcc
	flat_load_dwordx2 v[1:2], v[1:2]
	s_lshl_b32 s13, s20, 9
	s_ashr_i32 s14, s13, 31
	v_mov_b32_e32 v4, s14
	v_add_co_u32_e32 v3, vcc, s13, v3
	v_addc_co_u32_e32 v4, vcc, 0, v4, vcc
	v_cmp_gt_i64_e32 vcc, s[10:11], v[3:4]
	s_waitcnt vmcnt(0) lgkmcnt(0)
	v_mul_f64 v[1:2], v[1:2], v[1:2]
	s_and_saveexec_b64 s[10:11], vcc
	s_cbranch_execz .LBB15_3
; %bb.2:
	v_mul_lo_u32 v5, v4, s7
	v_mul_lo_u32 v6, v3, s3
	v_mad_u64_u32 v[3:4], s[14:15], v3, s7, 0
	v_add3_u32 v4, v4, v6, v5
	v_lshlrev_b64 v[3:4], 3, v[3:4]
	v_mov_b32_e32 v5, s12
	v_add_co_u32_e32 v3, vcc, s8, v3
	v_addc_co_u32_e32 v4, vcc, v5, v4, vcc
	flat_load_dwordx2 v[3:4], v[3:4]
	s_waitcnt vmcnt(0) lgkmcnt(0)
	v_fma_f64 v[1:2], v[3:4], v[3:4], v[1:2]
.LBB15_3:
	s_or_b64 exec, exec, s[10:11]
.LBB15_4:
	s_or_b64 exec, exec, s[0:1]
	v_and_b32_e32 v6, 63, v0
	v_cmp_gt_u32_e32 vcc, 64, v0
	v_lshlrev_b32_e32 v5, 3, v6
	s_and_saveexec_b64 s[0:1], vcc
; %bb.5:
	v_mov_b32_e32 v3, 0
	v_mov_b32_e32 v4, v3
	ds_write_b64 v5, v[3:4]
; %bb.6:
	s_or_b64 exec, exec, s[0:1]
	v_mbcnt_lo_u32_b32 v3, -1, 0
	v_mbcnt_hi_u32_b32 v9, -1, v3
	v_mov_b32_e32 v3, 0x80
	v_lshl_or_b32 v4, v9, 2, v3
	ds_bpermute_b32 v3, v4, v1
	ds_bpermute_b32 v4, v4, v2
	v_and_b32_e32 v10, 63, v9
	v_cmp_gt_u32_e64 s[0:1], 48, v10
	s_waitcnt lgkmcnt(0)
	s_barrier
	v_add_f64 v[1:2], v[1:2], v[3:4]
	v_cndmask_b32_e64 v3, 0, 16, s[0:1]
	v_add_lshl_u32 v4, v3, v9, 2
	v_cmp_gt_u32_e64 s[0:1], 56, v10
	ds_bpermute_b32 v3, v4, v1
	ds_bpermute_b32 v4, v4, v2
	s_waitcnt lgkmcnt(0)
	v_add_f64 v[1:2], v[1:2], v[3:4]
	v_cndmask_b32_e64 v3, 0, 8, s[0:1]
	v_add_lshl_u32 v4, v3, v9, 2
	v_cmp_gt_u32_e64 s[0:1], 60, v10
	ds_bpermute_b32 v3, v4, v1
	ds_bpermute_b32 v4, v4, v2
	s_waitcnt lgkmcnt(0)
	;; [unrolled: 7-line block ×3, first 2 shown]
	v_add_f64 v[1:2], v[1:2], v[3:4]
	v_cndmask_b32_e64 v3, 0, 2, s[0:1]
	v_add_lshl_u32 v8, v3, v9, 2
	v_cmp_ne_u32_e64 s[0:1], 63, v10
	ds_bpermute_b32 v3, v8, v1
	ds_bpermute_b32 v4, v8, v2
	s_waitcnt lgkmcnt(0)
	v_add_f64 v[1:2], v[1:2], v[3:4]
	v_addc_co_u32_e64 v3, s[0:1], 0, v9, s[0:1]
	v_lshlrev_b32_e32 v9, 2, v3
	v_cmp_eq_u32_e64 s[0:1], 0, v6
	ds_bpermute_b32 v3, v9, v1
	ds_bpermute_b32 v4, v9, v2
	s_and_saveexec_b64 s[10:11], s[0:1]
	s_cbranch_execz .LBB15_8
; %bb.7:
	s_waitcnt lgkmcnt(0)
	v_add_f64 v[1:2], v[1:2], v[3:4]
	v_lshrrev_b32_e32 v3, 3, v0
	v_and_b32_e32 v3, 56, v3
	ds_write_b64 v3, v[1:2]
.LBB15_8:
	s_or_b64 exec, exec, s[10:11]
	v_mov_b32_e32 v1, 0
	v_mov_b32_e32 v2, 0
	v_cmp_gt_u32_e64 s[0:1], 8, v0
	s_waitcnt lgkmcnt(0)
	s_barrier
	s_and_saveexec_b64 s[10:11], s[0:1]
; %bb.9:
	ds_read_b64 v[1:2], v5
; %bb.10:
	s_or_b64 exec, exec, s[10:11]
	s_and_saveexec_b64 s[0:1], vcc
	s_cbranch_execz .LBB15_12
; %bb.11:
	s_waitcnt lgkmcnt(0)
	ds_bpermute_b32 v3, v7, v1
	ds_bpermute_b32 v4, v7, v2
	s_waitcnt lgkmcnt(0)
	v_add_f64 v[1:2], v[1:2], v[3:4]
	ds_bpermute_b32 v3, v8, v1
	ds_bpermute_b32 v4, v8, v2
	s_waitcnt lgkmcnt(0)
	v_add_f64 v[1:2], v[1:2], v[3:4]
	;; [unrolled: 4-line block ×3, first 2 shown]
.LBB15_12:
	s_or_b64 exec, exec, s[0:1]
	s_mov_b32 s1, 0
	v_cmp_eq_u32_e32 vcc, 0, v0
	s_and_saveexec_b64 s[10:11], vcc
	s_cbranch_execz .LBB15_14
; %bb.13:
	s_load_dwordx2 s[4:5], s[4:5], 0x30
	s_mul_i32 s0, s9, s2
	s_add_i32 s0, s0, s6
	s_lshl_b64 s[0:1], s[0:1], 3
	v_mov_b32_e32 v0, 0
	s_waitcnt lgkmcnt(0)
	s_add_u32 s0, s4, s0
	s_addc_u32 s1, s5, s1
	global_store_dwordx2 v0, v[1:2], s[0:1]
.LBB15_14:
	s_endpgm
	.section	.rodata,"a",@progbits
	.p2align	6, 0x0
	.amdhsa_kernel _ZL30rocblas_reduction_kernel_part1IiLi512ELi2E18rocblas_fetch_nrm2IdEPKPKddEviiT3_lT_liPT4_
		.amdhsa_group_segment_fixed_size 512
		.amdhsa_private_segment_fixed_size 0
		.amdhsa_kernarg_size 312
		.amdhsa_user_sgpr_count 6
		.amdhsa_user_sgpr_private_segment_buffer 1
		.amdhsa_user_sgpr_dispatch_ptr 0
		.amdhsa_user_sgpr_queue_ptr 0
		.amdhsa_user_sgpr_kernarg_segment_ptr 1
		.amdhsa_user_sgpr_dispatch_id 0
		.amdhsa_user_sgpr_flat_scratch_init 0
		.amdhsa_user_sgpr_private_segment_size 0
		.amdhsa_uses_dynamic_stack 0
		.amdhsa_system_sgpr_private_segment_wavefront_offset 0
		.amdhsa_system_sgpr_workgroup_id_x 1
		.amdhsa_system_sgpr_workgroup_id_y 0
		.amdhsa_system_sgpr_workgroup_id_z 1
		.amdhsa_system_sgpr_workgroup_info 0
		.amdhsa_system_vgpr_workitem_id 0
		.amdhsa_next_free_vgpr 11
		.amdhsa_next_free_sgpr 21
		.amdhsa_reserve_vcc 1
		.amdhsa_reserve_flat_scratch 0
		.amdhsa_float_round_mode_32 0
		.amdhsa_float_round_mode_16_64 0
		.amdhsa_float_denorm_mode_32 3
		.amdhsa_float_denorm_mode_16_64 3
		.amdhsa_dx10_clamp 1
		.amdhsa_ieee_mode 1
		.amdhsa_fp16_overflow 0
		.amdhsa_exception_fp_ieee_invalid_op 0
		.amdhsa_exception_fp_denorm_src 0
		.amdhsa_exception_fp_ieee_div_zero 0
		.amdhsa_exception_fp_ieee_overflow 0
		.amdhsa_exception_fp_ieee_underflow 0
		.amdhsa_exception_fp_ieee_inexact 0
		.amdhsa_exception_int_div_zero 0
	.end_amdhsa_kernel
	.section	.text._ZL30rocblas_reduction_kernel_part1IiLi512ELi2E18rocblas_fetch_nrm2IdEPKPKddEviiT3_lT_liPT4_,"axG",@progbits,_ZL30rocblas_reduction_kernel_part1IiLi512ELi2E18rocblas_fetch_nrm2IdEPKPKddEviiT3_lT_liPT4_,comdat
.Lfunc_end15:
	.size	_ZL30rocblas_reduction_kernel_part1IiLi512ELi2E18rocblas_fetch_nrm2IdEPKPKddEviiT3_lT_liPT4_, .Lfunc_end15-_ZL30rocblas_reduction_kernel_part1IiLi512ELi2E18rocblas_fetch_nrm2IdEPKPKddEviiT3_lT_liPT4_
                                        ; -- End function
	.set _ZL30rocblas_reduction_kernel_part1IiLi512ELi2E18rocblas_fetch_nrm2IdEPKPKddEviiT3_lT_liPT4_.num_vgpr, 11
	.set _ZL30rocblas_reduction_kernel_part1IiLi512ELi2E18rocblas_fetch_nrm2IdEPKPKddEviiT3_lT_liPT4_.num_agpr, 0
	.set _ZL30rocblas_reduction_kernel_part1IiLi512ELi2E18rocblas_fetch_nrm2IdEPKPKddEviiT3_lT_liPT4_.numbered_sgpr, 21
	.set _ZL30rocblas_reduction_kernel_part1IiLi512ELi2E18rocblas_fetch_nrm2IdEPKPKddEviiT3_lT_liPT4_.num_named_barrier, 0
	.set _ZL30rocblas_reduction_kernel_part1IiLi512ELi2E18rocblas_fetch_nrm2IdEPKPKddEviiT3_lT_liPT4_.private_seg_size, 0
	.set _ZL30rocblas_reduction_kernel_part1IiLi512ELi2E18rocblas_fetch_nrm2IdEPKPKddEviiT3_lT_liPT4_.uses_vcc, 1
	.set _ZL30rocblas_reduction_kernel_part1IiLi512ELi2E18rocblas_fetch_nrm2IdEPKPKddEviiT3_lT_liPT4_.uses_flat_scratch, 0
	.set _ZL30rocblas_reduction_kernel_part1IiLi512ELi2E18rocblas_fetch_nrm2IdEPKPKddEviiT3_lT_liPT4_.has_dyn_sized_stack, 0
	.set _ZL30rocblas_reduction_kernel_part1IiLi512ELi2E18rocblas_fetch_nrm2IdEPKPKddEviiT3_lT_liPT4_.has_recursion, 0
	.set _ZL30rocblas_reduction_kernel_part1IiLi512ELi2E18rocblas_fetch_nrm2IdEPKPKddEviiT3_lT_liPT4_.has_indirect_call, 0
	.section	.AMDGPU.csdata,"",@progbits
; Kernel info:
; codeLenInByte = 900
; TotalNumSgprs: 25
; NumVgprs: 11
; ScratchSize: 0
; MemoryBound: 0
; FloatMode: 240
; IeeeMode: 1
; LDSByteSize: 512 bytes/workgroup (compile time only)
; SGPRBlocks: 3
; VGPRBlocks: 2
; NumSGPRsForWavesPerEU: 25
; NumVGPRsForWavesPerEU: 11
; Occupancy: 10
; WaveLimiterHint : 1
; COMPUTE_PGM_RSRC2:SCRATCH_EN: 0
; COMPUTE_PGM_RSRC2:USER_SGPR: 6
; COMPUTE_PGM_RSRC2:TRAP_HANDLER: 0
; COMPUTE_PGM_RSRC2:TGID_X_EN: 1
; COMPUTE_PGM_RSRC2:TGID_Y_EN: 0
; COMPUTE_PGM_RSRC2:TGID_Z_EN: 1
; COMPUTE_PGM_RSRC2:TIDIG_COMP_CNT: 0
	.section	.text._ZL30rocblas_reduction_kernel_part1IiLi512ELi4E18rocblas_fetch_nrm2IfEPK19rocblas_complex_numIfEfEviiT3_lT_liPT4_,"axG",@progbits,_ZL30rocblas_reduction_kernel_part1IiLi512ELi4E18rocblas_fetch_nrm2IfEPK19rocblas_complex_numIfEfEviiT3_lT_liPT4_,comdat
	.globl	_ZL30rocblas_reduction_kernel_part1IiLi512ELi4E18rocblas_fetch_nrm2IfEPK19rocblas_complex_numIfEfEviiT3_lT_liPT4_ ; -- Begin function _ZL30rocblas_reduction_kernel_part1IiLi512ELi4E18rocblas_fetch_nrm2IfEPK19rocblas_complex_numIfEfEviiT3_lT_liPT4_
	.p2align	8
	.type	_ZL30rocblas_reduction_kernel_part1IiLi512ELi4E18rocblas_fetch_nrm2IfEPK19rocblas_complex_numIfEfEviiT3_lT_liPT4_,@function
_ZL30rocblas_reduction_kernel_part1IiLi512ELi4E18rocblas_fetch_nrm2IfEPK19rocblas_complex_numIfEfEviiT3_lT_liPT4_: ; @_ZL30rocblas_reduction_kernel_part1IiLi512ELi4E18rocblas_fetch_nrm2IfEPK19rocblas_complex_numIfEfEviiT3_lT_liPT4_
; %bb.0:
	s_load_dwordx2 s[2:3], s[4:5], 0x0
	v_lshl_or_b32 v1, s6, 9, v0
	v_mov_b32_e32 v2, 0
	s_waitcnt lgkmcnt(0)
	s_ashr_i32 s9, s2, 31
	s_mov_b32 s8, s2
	v_cmp_gt_i64_e32 vcc, s[8:9], v[1:2]
	s_mov_b32 s2, 0
	s_and_saveexec_b64 s[10:11], vcc
	s_cbranch_execz .LBB16_4
; %bb.1:
	s_load_dword s17, s[4:5], 0x18
	s_load_dword s16, s[4:5], 0x38
	s_load_dwordx4 s[12:15], s[4:5], 0x8
	s_load_dwordx2 s[0:1], s[4:5], 0x20
	s_waitcnt lgkmcnt(0)
	v_mad_u64_u32 v[5:6], s[18:19], s17, v1, 0
	s_lshl_b32 s16, s16, 9
	s_ashr_i32 s21, s16, 31
	v_mov_b32_e32 v2, s21
	v_add_co_u32_e32 v3, vcc, s16, v1
	s_ashr_i32 s20, s17, 31
	v_addc_co_u32_e32 v4, vcc, 0, v2, vcc
	v_mov_b32_e32 v2, v6
	s_mul_i32 s1, s1, s7
	s_mul_hi_u32 s22, s0, s7
	v_mad_u64_u32 v[1:2], s[18:19], s20, v1, v[2:3]
	s_add_i32 s1, s22, s1
	s_mul_i32 s0, s0, s7
	s_lshl_b64 s[0:1], s[0:1], 3
	s_lshl_b64 s[14:15], s[14:15], 3
	s_add_u32 s12, s12, s14
	v_mov_b32_e32 v6, v1
	s_addc_u32 s13, s13, s15
	v_lshlrev_b64 v[1:2], 3, v[5:6]
	s_add_u32 s0, s12, s0
	s_addc_u32 s1, s13, s1
	v_mov_b32_e32 v5, s1
	v_add_co_u32_e32 v1, vcc, s0, v1
	v_addc_co_u32_e32 v2, vcc, v5, v2, vcc
	s_mul_hi_i32 s1, s17, s16
	s_mul_i32 s0, s17, s16
	v_add_co_u32_e32 v5, vcc, 4, v1
	s_lshl_b64 s[12:13], s[0:1], 3
	v_addc_co_u32_e32 v6, vcc, 0, v2, vcc
	v_mov_b32_e32 v2, 0
	s_mov_b64 s[14:15], 0
	v_mov_b32_e32 v1, s21
	v_mov_b32_e32 v7, s13
.LBB16_2:                               ; =>This Inner Loop Header: Depth=1
	global_load_dwordx2 v[8:9], v[5:6], off offset:-4
	v_cmp_le_i64_e32 vcc, s[8:9], v[3:4]
	v_add_co_u32_e64 v3, s[0:1], s16, v3
	v_addc_co_u32_e64 v4, s[0:1], v4, v1, s[0:1]
	s_add_i32 s13, s2, 1
	v_add_co_u32_e64 v5, s[0:1], s12, v5
	v_addc_co_u32_e64 v6, s[0:1], v6, v7, s[0:1]
	s_cmp_gt_u32 s2, 2
	s_cselect_b64 s[0:1], -1, 0
	s_or_b64 s[0:1], s[0:1], vcc
	s_and_b64 s[0:1], exec, s[0:1]
	s_mov_b32 s2, s13
	s_or_b64 s[14:15], s[0:1], s[14:15]
	s_waitcnt vmcnt(0)
	v_mul_f32_e32 v9, v9, v9
	v_fmac_f32_e32 v9, v8, v8
	v_add_f32_e32 v2, v2, v9
	s_andn2_b64 exec, exec, s[14:15]
	s_cbranch_execnz .LBB16_2
; %bb.3:
	s_or_b64 exec, exec, s[14:15]
.LBB16_4:
	s_or_b64 exec, exec, s[10:11]
	v_and_b32_e32 v3, 63, v0
	v_cmp_gt_u32_e32 vcc, 64, v0
	v_lshlrev_b32_e32 v1, 2, v3
	s_and_saveexec_b64 s[0:1], vcc
; %bb.5:
	v_mov_b32_e32 v4, 0
	ds_write_b32 v1, v4
; %bb.6:
	s_or_b64 exec, exec, s[0:1]
	v_mbcnt_lo_u32_b32 v4, -1, 0
	v_mbcnt_hi_u32_b32 v5, -1, v4
	v_mov_b32_e32 v4, 0x80
	v_lshl_or_b32 v4, v5, 2, v4
	ds_bpermute_b32 v4, v4, v2
	v_and_b32_e32 v6, 63, v5
	v_cmp_gt_u32_e64 s[0:1], 48, v6
	v_cndmask_b32_e64 v7, 0, 16, s[0:1]
	v_cmp_gt_u32_e64 s[0:1], 56, v6
	s_waitcnt lgkmcnt(0)
	v_add_f32_e32 v2, v2, v4
	v_add_lshl_u32 v4, v7, v5, 2
	ds_bpermute_b32 v4, v4, v2
	v_cndmask_b32_e64 v7, 0, 8, s[0:1]
	v_add_lshl_u32 v7, v7, v5, 2
	v_cmp_gt_u32_e64 s[0:1], 60, v6
	s_waitcnt lgkmcnt(0)
	v_add_f32_e32 v4, v2, v4
	ds_bpermute_b32 v7, v7, v4
	v_cndmask_b32_e64 v2, 0, 4, s[0:1]
	v_add_lshl_u32 v2, v2, v5, 2
	v_cmp_gt_u32_e64 s[0:1], 62, v6
	s_waitcnt lgkmcnt(0)
	s_barrier
	v_add_f32_e32 v7, v4, v7
	ds_bpermute_b32 v8, v2, v7
	v_cndmask_b32_e64 v4, 0, 2, s[0:1]
	v_add_lshl_u32 v4, v4, v5, 2
	v_cmp_ne_u32_e64 s[0:1], 63, v6
	v_addc_co_u32_e64 v5, s[0:1], 0, v5, s[0:1]
	s_waitcnt lgkmcnt(0)
	v_add_f32_e32 v7, v7, v8
	ds_bpermute_b32 v8, v4, v7
	v_lshlrev_b32_e32 v5, 2, v5
	v_cmp_eq_u32_e64 s[0:1], 0, v3
	s_waitcnt lgkmcnt(0)
	v_add_f32_e32 v6, v7, v8
	ds_bpermute_b32 v7, v5, v6
	s_and_saveexec_b64 s[8:9], s[0:1]
	s_cbranch_execz .LBB16_8
; %bb.7:
	s_waitcnt lgkmcnt(0)
	v_add_f32_e32 v3, v6, v7
	v_lshrrev_b32_e32 v6, 4, v0
	v_and_b32_e32 v6, 28, v6
	ds_write_b32 v6, v3
.LBB16_8:
	s_or_b64 exec, exec, s[8:9]
	v_cmp_gt_u32_e64 s[0:1], 8, v0
	v_mov_b32_e32 v3, 0
	s_waitcnt lgkmcnt(0)
	s_barrier
	s_and_saveexec_b64 s[8:9], s[0:1]
; %bb.9:
	ds_read_b32 v3, v1
; %bb.10:
	s_or_b64 exec, exec, s[8:9]
	s_and_saveexec_b64 s[0:1], vcc
	s_cbranch_execz .LBB16_12
; %bb.11:
	s_waitcnt lgkmcnt(0)
	ds_bpermute_b32 v1, v2, v3
	s_waitcnt lgkmcnt(0)
	v_add_f32_e32 v1, v3, v1
	ds_bpermute_b32 v2, v4, v1
	s_waitcnt lgkmcnt(0)
	v_add_f32_e32 v1, v1, v2
	;; [unrolled: 3-line block ×3, first 2 shown]
.LBB16_12:
	s_or_b64 exec, exec, s[0:1]
	s_mov_b32 s1, 0
	v_cmp_eq_u32_e32 vcc, 0, v0
	s_and_saveexec_b64 s[8:9], vcc
	s_cbranch_execz .LBB16_14
; %bb.13:
	s_load_dwordx2 s[4:5], s[4:5], 0x30
	s_mul_i32 s0, s3, s7
	s_add_i32 s0, s0, s6
	s_lshl_b64 s[0:1], s[0:1], 2
	v_mov_b32_e32 v0, 0
	s_waitcnt lgkmcnt(0)
	s_add_u32 s0, s4, s0
	s_addc_u32 s1, s5, s1
	global_store_dword v0, v3, s[0:1]
.LBB16_14:
	s_endpgm
	.section	.rodata,"a",@progbits
	.p2align	6, 0x0
	.amdhsa_kernel _ZL30rocblas_reduction_kernel_part1IiLi512ELi4E18rocblas_fetch_nrm2IfEPK19rocblas_complex_numIfEfEviiT3_lT_liPT4_
		.amdhsa_group_segment_fixed_size 256
		.amdhsa_private_segment_fixed_size 0
		.amdhsa_kernarg_size 312
		.amdhsa_user_sgpr_count 6
		.amdhsa_user_sgpr_private_segment_buffer 1
		.amdhsa_user_sgpr_dispatch_ptr 0
		.amdhsa_user_sgpr_queue_ptr 0
		.amdhsa_user_sgpr_kernarg_segment_ptr 1
		.amdhsa_user_sgpr_dispatch_id 0
		.amdhsa_user_sgpr_flat_scratch_init 0
		.amdhsa_user_sgpr_private_segment_size 0
		.amdhsa_uses_dynamic_stack 0
		.amdhsa_system_sgpr_private_segment_wavefront_offset 0
		.amdhsa_system_sgpr_workgroup_id_x 1
		.amdhsa_system_sgpr_workgroup_id_y 0
		.amdhsa_system_sgpr_workgroup_id_z 1
		.amdhsa_system_sgpr_workgroup_info 0
		.amdhsa_system_vgpr_workitem_id 0
		.amdhsa_next_free_vgpr 10
		.amdhsa_next_free_sgpr 23
		.amdhsa_reserve_vcc 1
		.amdhsa_reserve_flat_scratch 0
		.amdhsa_float_round_mode_32 0
		.amdhsa_float_round_mode_16_64 0
		.amdhsa_float_denorm_mode_32 3
		.amdhsa_float_denorm_mode_16_64 3
		.amdhsa_dx10_clamp 1
		.amdhsa_ieee_mode 1
		.amdhsa_fp16_overflow 0
		.amdhsa_exception_fp_ieee_invalid_op 0
		.amdhsa_exception_fp_denorm_src 0
		.amdhsa_exception_fp_ieee_div_zero 0
		.amdhsa_exception_fp_ieee_overflow 0
		.amdhsa_exception_fp_ieee_underflow 0
		.amdhsa_exception_fp_ieee_inexact 0
		.amdhsa_exception_int_div_zero 0
	.end_amdhsa_kernel
	.section	.text._ZL30rocblas_reduction_kernel_part1IiLi512ELi4E18rocblas_fetch_nrm2IfEPK19rocblas_complex_numIfEfEviiT3_lT_liPT4_,"axG",@progbits,_ZL30rocblas_reduction_kernel_part1IiLi512ELi4E18rocblas_fetch_nrm2IfEPK19rocblas_complex_numIfEfEviiT3_lT_liPT4_,comdat
.Lfunc_end16:
	.size	_ZL30rocblas_reduction_kernel_part1IiLi512ELi4E18rocblas_fetch_nrm2IfEPK19rocblas_complex_numIfEfEviiT3_lT_liPT4_, .Lfunc_end16-_ZL30rocblas_reduction_kernel_part1IiLi512ELi4E18rocblas_fetch_nrm2IfEPK19rocblas_complex_numIfEfEviiT3_lT_liPT4_
                                        ; -- End function
	.set _ZL30rocblas_reduction_kernel_part1IiLi512ELi4E18rocblas_fetch_nrm2IfEPK19rocblas_complex_numIfEfEviiT3_lT_liPT4_.num_vgpr, 10
	.set _ZL30rocblas_reduction_kernel_part1IiLi512ELi4E18rocblas_fetch_nrm2IfEPK19rocblas_complex_numIfEfEviiT3_lT_liPT4_.num_agpr, 0
	.set _ZL30rocblas_reduction_kernel_part1IiLi512ELi4E18rocblas_fetch_nrm2IfEPK19rocblas_complex_numIfEfEviiT3_lT_liPT4_.numbered_sgpr, 23
	.set _ZL30rocblas_reduction_kernel_part1IiLi512ELi4E18rocblas_fetch_nrm2IfEPK19rocblas_complex_numIfEfEviiT3_lT_liPT4_.num_named_barrier, 0
	.set _ZL30rocblas_reduction_kernel_part1IiLi512ELi4E18rocblas_fetch_nrm2IfEPK19rocblas_complex_numIfEfEviiT3_lT_liPT4_.private_seg_size, 0
	.set _ZL30rocblas_reduction_kernel_part1IiLi512ELi4E18rocblas_fetch_nrm2IfEPK19rocblas_complex_numIfEfEviiT3_lT_liPT4_.uses_vcc, 1
	.set _ZL30rocblas_reduction_kernel_part1IiLi512ELi4E18rocblas_fetch_nrm2IfEPK19rocblas_complex_numIfEfEviiT3_lT_liPT4_.uses_flat_scratch, 0
	.set _ZL30rocblas_reduction_kernel_part1IiLi512ELi4E18rocblas_fetch_nrm2IfEPK19rocblas_complex_numIfEfEviiT3_lT_liPT4_.has_dyn_sized_stack, 0
	.set _ZL30rocblas_reduction_kernel_part1IiLi512ELi4E18rocblas_fetch_nrm2IfEPK19rocblas_complex_numIfEfEviiT3_lT_liPT4_.has_recursion, 0
	.set _ZL30rocblas_reduction_kernel_part1IiLi512ELi4E18rocblas_fetch_nrm2IfEPK19rocblas_complex_numIfEfEviiT3_lT_liPT4_.has_indirect_call, 0
	.section	.AMDGPU.csdata,"",@progbits
; Kernel info:
; codeLenInByte = 816
; TotalNumSgprs: 27
; NumVgprs: 10
; ScratchSize: 0
; MemoryBound: 0
; FloatMode: 240
; IeeeMode: 1
; LDSByteSize: 256 bytes/workgroup (compile time only)
; SGPRBlocks: 3
; VGPRBlocks: 2
; NumSGPRsForWavesPerEU: 27
; NumVGPRsForWavesPerEU: 10
; Occupancy: 10
; WaveLimiterHint : 0
; COMPUTE_PGM_RSRC2:SCRATCH_EN: 0
; COMPUTE_PGM_RSRC2:USER_SGPR: 6
; COMPUTE_PGM_RSRC2:TRAP_HANDLER: 0
; COMPUTE_PGM_RSRC2:TGID_X_EN: 1
; COMPUTE_PGM_RSRC2:TGID_Y_EN: 0
; COMPUTE_PGM_RSRC2:TGID_Z_EN: 1
; COMPUTE_PGM_RSRC2:TIDIG_COMP_CNT: 0
	.section	.text._ZL30rocblas_reduction_kernel_part1IiLi512ELi4E18rocblas_fetch_nrm2IfEPKPK19rocblas_complex_numIfEfEviiT3_lT_liPT4_,"axG",@progbits,_ZL30rocblas_reduction_kernel_part1IiLi512ELi4E18rocblas_fetch_nrm2IfEPKPK19rocblas_complex_numIfEfEviiT3_lT_liPT4_,comdat
	.globl	_ZL30rocblas_reduction_kernel_part1IiLi512ELi4E18rocblas_fetch_nrm2IfEPKPK19rocblas_complex_numIfEfEviiT3_lT_liPT4_ ; -- Begin function _ZL30rocblas_reduction_kernel_part1IiLi512ELi4E18rocblas_fetch_nrm2IfEPKPK19rocblas_complex_numIfEfEviiT3_lT_liPT4_
	.p2align	8
	.type	_ZL30rocblas_reduction_kernel_part1IiLi512ELi4E18rocblas_fetch_nrm2IfEPKPK19rocblas_complex_numIfEfEviiT3_lT_liPT4_,@function
_ZL30rocblas_reduction_kernel_part1IiLi512ELi4E18rocblas_fetch_nrm2IfEPKPK19rocblas_complex_numIfEfEviiT3_lT_liPT4_: ; @_ZL30rocblas_reduction_kernel_part1IiLi512ELi4E18rocblas_fetch_nrm2IfEPKPK19rocblas_complex_numIfEfEviiT3_lT_liPT4_
; %bb.0:
	s_load_dwordx2 s[8:9], s[4:5], 0x0
	v_lshl_or_b32 v1, s6, 9, v0
	v_mov_b32_e32 v2, 0
	s_mov_b32 s2, s7
	s_waitcnt lgkmcnt(0)
	s_ashr_i32 s13, s8, 31
	s_mov_b32 s12, s8
	v_cmp_gt_i64_e32 vcc, s[12:13], v[1:2]
	s_and_saveexec_b64 s[10:11], vcc
	s_cbranch_execz .LBB17_4
; %bb.1:
	s_load_dword s8, s[4:5], 0x18
	s_load_dwordx4 s[16:19], s[4:5], 0x8
	s_mov_b32 s3, 0
	s_lshl_b64 s[0:1], s[2:3], 3
	s_load_dword s7, s[4:5], 0x38
	s_waitcnt lgkmcnt(0)
	v_mad_u64_u32 v[5:6], s[14:15], s8, v1, 0
	s_ashr_i32 s20, s8, 31
	s_add_u32 s0, s16, s0
	s_addc_u32 s1, s17, s1
	v_mov_b32_e32 v2, v6
	s_load_dwordx2 s[0:1], s[0:1], 0x0
	v_mad_u64_u32 v[2:3], s[14:15], s20, v1, v[2:3]
	s_lshl_b32 s7, s7, 9
	s_ashr_i32 s21, s7, 31
	v_mov_b32_e32 v6, v2
	s_lshl_b64 s[14:15], s[18:19], 3
	v_mov_b32_e32 v4, s21
	v_add_co_u32_e32 v3, vcc, s7, v1
	v_lshlrev_b64 v[1:2], 3, v[5:6]
	s_waitcnt lgkmcnt(0)
	s_add_u32 s0, s0, s14
	v_addc_co_u32_e32 v4, vcc, 0, v4, vcc
	s_addc_u32 s1, s1, s15
	v_mov_b32_e32 v6, s1
	v_add_co_u32_e32 v5, vcc, s0, v1
	s_mul_hi_i32 s1, s8, s7
	s_mul_i32 s0, s8, s7
	s_lshl_b64 s[14:15], s[0:1], 3
	v_addc_co_u32_e32 v6, vcc, v6, v2, vcc
	v_mov_b32_e32 v2, 0
	s_mov_b64 s[16:17], 0
	v_mov_b32_e32 v1, s21
	v_mov_b32_e32 v7, s15
.LBB17_2:                               ; =>This Inner Loop Header: Depth=1
	flat_load_dwordx2 v[8:9], v[5:6]
	v_cmp_le_i64_e32 vcc, s[12:13], v[3:4]
	v_add_co_u32_e64 v3, s[0:1], s7, v3
	v_addc_co_u32_e64 v4, s[0:1], v4, v1, s[0:1]
	s_add_i32 s8, s3, 1
	v_add_co_u32_e64 v5, s[0:1], s14, v5
	v_addc_co_u32_e64 v6, s[0:1], v6, v7, s[0:1]
	s_cmp_gt_u32 s3, 2
	s_cselect_b64 s[0:1], -1, 0
	s_or_b64 s[0:1], s[0:1], vcc
	s_and_b64 s[0:1], exec, s[0:1]
	s_mov_b32 s3, s8
	s_or_b64 s[16:17], s[0:1], s[16:17]
	s_waitcnt vmcnt(0) lgkmcnt(0)
	v_mul_f32_e32 v9, v9, v9
	v_fmac_f32_e32 v9, v8, v8
	v_add_f32_e32 v2, v2, v9
	s_andn2_b64 exec, exec, s[16:17]
	s_cbranch_execnz .LBB17_2
; %bb.3:
	s_or_b64 exec, exec, s[16:17]
.LBB17_4:
	s_or_b64 exec, exec, s[10:11]
	v_and_b32_e32 v3, 63, v0
	v_cmp_gt_u32_e32 vcc, 64, v0
	v_lshlrev_b32_e32 v1, 2, v3
	s_and_saveexec_b64 s[0:1], vcc
; %bb.5:
	v_mov_b32_e32 v4, 0
	ds_write_b32 v1, v4
; %bb.6:
	s_or_b64 exec, exec, s[0:1]
	v_mbcnt_lo_u32_b32 v4, -1, 0
	v_mbcnt_hi_u32_b32 v5, -1, v4
	v_mov_b32_e32 v4, 0x80
	v_lshl_or_b32 v4, v5, 2, v4
	ds_bpermute_b32 v4, v4, v2
	v_and_b32_e32 v6, 63, v5
	v_cmp_gt_u32_e64 s[0:1], 48, v6
	v_cndmask_b32_e64 v7, 0, 16, s[0:1]
	v_cmp_gt_u32_e64 s[0:1], 56, v6
	s_waitcnt lgkmcnt(0)
	v_add_f32_e32 v2, v2, v4
	v_add_lshl_u32 v4, v7, v5, 2
	ds_bpermute_b32 v4, v4, v2
	v_cndmask_b32_e64 v7, 0, 8, s[0:1]
	v_add_lshl_u32 v7, v7, v5, 2
	v_cmp_gt_u32_e64 s[0:1], 60, v6
	s_waitcnt lgkmcnt(0)
	v_add_f32_e32 v4, v2, v4
	ds_bpermute_b32 v7, v7, v4
	v_cndmask_b32_e64 v2, 0, 4, s[0:1]
	v_add_lshl_u32 v2, v2, v5, 2
	v_cmp_gt_u32_e64 s[0:1], 62, v6
	s_waitcnt lgkmcnt(0)
	s_barrier
	v_add_f32_e32 v7, v4, v7
	ds_bpermute_b32 v8, v2, v7
	v_cndmask_b32_e64 v4, 0, 2, s[0:1]
	v_add_lshl_u32 v4, v4, v5, 2
	v_cmp_ne_u32_e64 s[0:1], 63, v6
	v_addc_co_u32_e64 v5, s[0:1], 0, v5, s[0:1]
	s_waitcnt lgkmcnt(0)
	v_add_f32_e32 v7, v7, v8
	ds_bpermute_b32 v8, v4, v7
	v_lshlrev_b32_e32 v5, 2, v5
	v_cmp_eq_u32_e64 s[0:1], 0, v3
	s_waitcnt lgkmcnt(0)
	v_add_f32_e32 v6, v7, v8
	ds_bpermute_b32 v7, v5, v6
	s_and_saveexec_b64 s[10:11], s[0:1]
	s_cbranch_execz .LBB17_8
; %bb.7:
	s_waitcnt lgkmcnt(0)
	v_add_f32_e32 v3, v6, v7
	v_lshrrev_b32_e32 v6, 4, v0
	v_and_b32_e32 v6, 28, v6
	ds_write_b32 v6, v3
.LBB17_8:
	s_or_b64 exec, exec, s[10:11]
	v_cmp_gt_u32_e64 s[0:1], 8, v0
	v_mov_b32_e32 v3, 0
	s_waitcnt lgkmcnt(0)
	s_barrier
	s_and_saveexec_b64 s[10:11], s[0:1]
; %bb.9:
	ds_read_b32 v3, v1
; %bb.10:
	s_or_b64 exec, exec, s[10:11]
	s_and_saveexec_b64 s[0:1], vcc
	s_cbranch_execz .LBB17_12
; %bb.11:
	s_waitcnt lgkmcnt(0)
	ds_bpermute_b32 v1, v2, v3
	s_waitcnt lgkmcnt(0)
	v_add_f32_e32 v1, v3, v1
	ds_bpermute_b32 v2, v4, v1
	s_waitcnt lgkmcnt(0)
	v_add_f32_e32 v1, v1, v2
	;; [unrolled: 3-line block ×3, first 2 shown]
.LBB17_12:
	s_or_b64 exec, exec, s[0:1]
	s_mov_b32 s1, 0
	v_cmp_eq_u32_e32 vcc, 0, v0
	s_and_saveexec_b64 s[10:11], vcc
	s_cbranch_execz .LBB17_14
; %bb.13:
	s_load_dwordx2 s[4:5], s[4:5], 0x30
	s_mul_i32 s0, s9, s2
	s_add_i32 s0, s0, s6
	s_lshl_b64 s[0:1], s[0:1], 2
	v_mov_b32_e32 v0, 0
	s_waitcnt lgkmcnt(0)
	s_add_u32 s0, s4, s0
	s_addc_u32 s1, s5, s1
	global_store_dword v0, v3, s[0:1]
.LBB17_14:
	s_endpgm
	.section	.rodata,"a",@progbits
	.p2align	6, 0x0
	.amdhsa_kernel _ZL30rocblas_reduction_kernel_part1IiLi512ELi4E18rocblas_fetch_nrm2IfEPKPK19rocblas_complex_numIfEfEviiT3_lT_liPT4_
		.amdhsa_group_segment_fixed_size 256
		.amdhsa_private_segment_fixed_size 0
		.amdhsa_kernarg_size 312
		.amdhsa_user_sgpr_count 6
		.amdhsa_user_sgpr_private_segment_buffer 1
		.amdhsa_user_sgpr_dispatch_ptr 0
		.amdhsa_user_sgpr_queue_ptr 0
		.amdhsa_user_sgpr_kernarg_segment_ptr 1
		.amdhsa_user_sgpr_dispatch_id 0
		.amdhsa_user_sgpr_flat_scratch_init 0
		.amdhsa_user_sgpr_private_segment_size 0
		.amdhsa_uses_dynamic_stack 0
		.amdhsa_system_sgpr_private_segment_wavefront_offset 0
		.amdhsa_system_sgpr_workgroup_id_x 1
		.amdhsa_system_sgpr_workgroup_id_y 0
		.amdhsa_system_sgpr_workgroup_id_z 1
		.amdhsa_system_sgpr_workgroup_info 0
		.amdhsa_system_vgpr_workitem_id 0
		.amdhsa_next_free_vgpr 10
		.amdhsa_next_free_sgpr 22
		.amdhsa_reserve_vcc 1
		.amdhsa_reserve_flat_scratch 0
		.amdhsa_float_round_mode_32 0
		.amdhsa_float_round_mode_16_64 0
		.amdhsa_float_denorm_mode_32 3
		.amdhsa_float_denorm_mode_16_64 3
		.amdhsa_dx10_clamp 1
		.amdhsa_ieee_mode 1
		.amdhsa_fp16_overflow 0
		.amdhsa_exception_fp_ieee_invalid_op 0
		.amdhsa_exception_fp_denorm_src 0
		.amdhsa_exception_fp_ieee_div_zero 0
		.amdhsa_exception_fp_ieee_overflow 0
		.amdhsa_exception_fp_ieee_underflow 0
		.amdhsa_exception_fp_ieee_inexact 0
		.amdhsa_exception_int_div_zero 0
	.end_amdhsa_kernel
	.section	.text._ZL30rocblas_reduction_kernel_part1IiLi512ELi4E18rocblas_fetch_nrm2IfEPKPK19rocblas_complex_numIfEfEviiT3_lT_liPT4_,"axG",@progbits,_ZL30rocblas_reduction_kernel_part1IiLi512ELi4E18rocblas_fetch_nrm2IfEPKPK19rocblas_complex_numIfEfEviiT3_lT_liPT4_,comdat
.Lfunc_end17:
	.size	_ZL30rocblas_reduction_kernel_part1IiLi512ELi4E18rocblas_fetch_nrm2IfEPKPK19rocblas_complex_numIfEfEviiT3_lT_liPT4_, .Lfunc_end17-_ZL30rocblas_reduction_kernel_part1IiLi512ELi4E18rocblas_fetch_nrm2IfEPKPK19rocblas_complex_numIfEfEviiT3_lT_liPT4_
                                        ; -- End function
	.set _ZL30rocblas_reduction_kernel_part1IiLi512ELi4E18rocblas_fetch_nrm2IfEPKPK19rocblas_complex_numIfEfEviiT3_lT_liPT4_.num_vgpr, 10
	.set _ZL30rocblas_reduction_kernel_part1IiLi512ELi4E18rocblas_fetch_nrm2IfEPKPK19rocblas_complex_numIfEfEviiT3_lT_liPT4_.num_agpr, 0
	.set _ZL30rocblas_reduction_kernel_part1IiLi512ELi4E18rocblas_fetch_nrm2IfEPKPK19rocblas_complex_numIfEfEviiT3_lT_liPT4_.numbered_sgpr, 22
	.set _ZL30rocblas_reduction_kernel_part1IiLi512ELi4E18rocblas_fetch_nrm2IfEPKPK19rocblas_complex_numIfEfEviiT3_lT_liPT4_.num_named_barrier, 0
	.set _ZL30rocblas_reduction_kernel_part1IiLi512ELi4E18rocblas_fetch_nrm2IfEPKPK19rocblas_complex_numIfEfEviiT3_lT_liPT4_.private_seg_size, 0
	.set _ZL30rocblas_reduction_kernel_part1IiLi512ELi4E18rocblas_fetch_nrm2IfEPKPK19rocblas_complex_numIfEfEviiT3_lT_liPT4_.uses_vcc, 1
	.set _ZL30rocblas_reduction_kernel_part1IiLi512ELi4E18rocblas_fetch_nrm2IfEPKPK19rocblas_complex_numIfEfEviiT3_lT_liPT4_.uses_flat_scratch, 0
	.set _ZL30rocblas_reduction_kernel_part1IiLi512ELi4E18rocblas_fetch_nrm2IfEPKPK19rocblas_complex_numIfEfEviiT3_lT_liPT4_.has_dyn_sized_stack, 0
	.set _ZL30rocblas_reduction_kernel_part1IiLi512ELi4E18rocblas_fetch_nrm2IfEPKPK19rocblas_complex_numIfEfEviiT3_lT_liPT4_.has_recursion, 0
	.set _ZL30rocblas_reduction_kernel_part1IiLi512ELi4E18rocblas_fetch_nrm2IfEPKPK19rocblas_complex_numIfEfEviiT3_lT_liPT4_.has_indirect_call, 0
	.section	.AMDGPU.csdata,"",@progbits
; Kernel info:
; codeLenInByte = 800
; TotalNumSgprs: 26
; NumVgprs: 10
; ScratchSize: 0
; MemoryBound: 0
; FloatMode: 240
; IeeeMode: 1
; LDSByteSize: 256 bytes/workgroup (compile time only)
; SGPRBlocks: 3
; VGPRBlocks: 2
; NumSGPRsForWavesPerEU: 26
; NumVGPRsForWavesPerEU: 10
; Occupancy: 10
; WaveLimiterHint : 0
; COMPUTE_PGM_RSRC2:SCRATCH_EN: 0
; COMPUTE_PGM_RSRC2:USER_SGPR: 6
; COMPUTE_PGM_RSRC2:TRAP_HANDLER: 0
; COMPUTE_PGM_RSRC2:TGID_X_EN: 1
; COMPUTE_PGM_RSRC2:TGID_Y_EN: 0
; COMPUTE_PGM_RSRC2:TGID_Z_EN: 1
; COMPUTE_PGM_RSRC2:TIDIG_COMP_CNT: 0
	.section	.text._ZL30rocblas_reduction_kernel_part1IiLi512ELi2E18rocblas_fetch_nrm2IdEPK19rocblas_complex_numIdEdEviiT3_lT_liPT4_,"axG",@progbits,_ZL30rocblas_reduction_kernel_part1IiLi512ELi2E18rocblas_fetch_nrm2IdEPK19rocblas_complex_numIdEdEviiT3_lT_liPT4_,comdat
	.globl	_ZL30rocblas_reduction_kernel_part1IiLi512ELi2E18rocblas_fetch_nrm2IdEPK19rocblas_complex_numIdEdEviiT3_lT_liPT4_ ; -- Begin function _ZL30rocblas_reduction_kernel_part1IiLi512ELi2E18rocblas_fetch_nrm2IdEPK19rocblas_complex_numIdEdEviiT3_lT_liPT4_
	.p2align	8
	.type	_ZL30rocblas_reduction_kernel_part1IiLi512ELi2E18rocblas_fetch_nrm2IdEPK19rocblas_complex_numIdEdEviiT3_lT_liPT4_,@function
_ZL30rocblas_reduction_kernel_part1IiLi512ELi2E18rocblas_fetch_nrm2IdEPK19rocblas_complex_numIdEdEviiT3_lT_liPT4_: ; @_ZL30rocblas_reduction_kernel_part1IiLi512ELi2E18rocblas_fetch_nrm2IdEPK19rocblas_complex_numIdEdEviiT3_lT_liPT4_
; %bb.0:
	s_load_dwordx2 s[2:3], s[4:5], 0x0
	v_lshl_or_b32 v3, s6, 9, v0
	v_mov_b32_e32 v4, 0
	v_mov_b32_e32 v1, 0
	;; [unrolled: 1-line block ×3, first 2 shown]
	s_waitcnt lgkmcnt(0)
	s_ashr_i32 s9, s2, 31
	s_mov_b32 s8, s2
	v_cmp_gt_i64_e32 vcc, s[8:9], v[3:4]
	s_and_saveexec_b64 s[0:1], vcc
	s_cbranch_execz .LBB18_4
; %bb.1:
	s_load_dword s2, s[4:5], 0x18
	s_load_dwordx2 s[16:17], s[4:5], 0x20
	s_load_dwordx4 s[12:15], s[4:5], 0x8
	s_load_dword s20, s[4:5], 0x38
	s_waitcnt lgkmcnt(0)
	v_mad_u64_u32 v[1:2], s[18:19], v3, s2, 0
	s_mul_i32 s11, s17, s7
	s_mul_hi_u32 s17, s16, s7
	s_add_i32 s17, s17, s11
	s_mul_i32 s16, s16, s7
	s_ashr_i32 s10, s2, 31
	s_lshl_b64 s[16:17], s[16:17], 4
	s_add_u32 s11, s12, s16
	s_addc_u32 s16, s13, s17
	v_mad_u64_u32 v[4:5], s[12:13], v3, s10, v[2:3]
	s_lshl_b64 s[12:13], s[14:15], 4
	s_add_u32 s11, s11, s12
	v_mov_b32_e32 v2, v4
	v_lshlrev_b64 v[1:2], 4, v[1:2]
	s_addc_u32 s12, s16, s13
	v_mov_b32_e32 v4, s12
	v_add_co_u32_e32 v1, vcc, s11, v1
	v_addc_co_u32_e32 v2, vcc, v4, v2, vcc
	global_load_dwordx4 v[4:7], v[1:2], off
	s_lshl_b32 s13, s20, 9
	s_ashr_i32 s14, s13, 31
	v_add_co_u32_e32 v3, vcc, s13, v3
	s_waitcnt vmcnt(0)
	v_mul_f64 v[1:2], v[6:7], v[6:7]
	v_fma_f64 v[1:2], v[4:5], v[4:5], v[1:2]
	v_mov_b32_e32 v4, s14
	v_addc_co_u32_e32 v4, vcc, 0, v4, vcc
	v_cmp_gt_i64_e32 vcc, s[8:9], v[3:4]
	s_and_saveexec_b64 s[8:9], vcc
	s_cbranch_execz .LBB18_3
; %bb.2:
	v_mul_lo_u32 v5, v4, s2
	v_mul_lo_u32 v6, v3, s10
	v_mad_u64_u32 v[3:4], s[14:15], v3, s2, 0
	v_add3_u32 v4, v4, v6, v5
	v_lshlrev_b64 v[3:4], 4, v[3:4]
	v_mov_b32_e32 v5, s12
	v_add_co_u32_e32 v3, vcc, s11, v3
	v_addc_co_u32_e32 v4, vcc, v5, v4, vcc
	global_load_dwordx4 v[3:6], v[3:4], off
	s_waitcnt vmcnt(0)
	v_mul_f64 v[5:6], v[5:6], v[5:6]
	v_fma_f64 v[3:4], v[3:4], v[3:4], v[5:6]
	v_add_f64 v[1:2], v[1:2], v[3:4]
.LBB18_3:
	s_or_b64 exec, exec, s[8:9]
.LBB18_4:
	s_or_b64 exec, exec, s[0:1]
	v_and_b32_e32 v6, 63, v0
	v_cmp_gt_u32_e32 vcc, 64, v0
	v_lshlrev_b32_e32 v5, 3, v6
	s_and_saveexec_b64 s[0:1], vcc
; %bb.5:
	v_mov_b32_e32 v3, 0
	v_mov_b32_e32 v4, v3
	ds_write_b64 v5, v[3:4]
; %bb.6:
	s_or_b64 exec, exec, s[0:1]
	v_mbcnt_lo_u32_b32 v3, -1, 0
	v_mbcnt_hi_u32_b32 v9, -1, v3
	v_mov_b32_e32 v3, 0x80
	v_lshl_or_b32 v4, v9, 2, v3
	ds_bpermute_b32 v3, v4, v1
	ds_bpermute_b32 v4, v4, v2
	v_and_b32_e32 v10, 63, v9
	v_cmp_gt_u32_e64 s[0:1], 48, v10
	s_waitcnt lgkmcnt(0)
	s_barrier
	v_add_f64 v[1:2], v[1:2], v[3:4]
	v_cndmask_b32_e64 v3, 0, 16, s[0:1]
	v_add_lshl_u32 v4, v3, v9, 2
	v_cmp_gt_u32_e64 s[0:1], 56, v10
	ds_bpermute_b32 v3, v4, v1
	ds_bpermute_b32 v4, v4, v2
	s_waitcnt lgkmcnt(0)
	v_add_f64 v[1:2], v[1:2], v[3:4]
	v_cndmask_b32_e64 v3, 0, 8, s[0:1]
	v_add_lshl_u32 v4, v3, v9, 2
	v_cmp_gt_u32_e64 s[0:1], 60, v10
	ds_bpermute_b32 v3, v4, v1
	ds_bpermute_b32 v4, v4, v2
	s_waitcnt lgkmcnt(0)
	;; [unrolled: 7-line block ×3, first 2 shown]
	v_add_f64 v[1:2], v[1:2], v[3:4]
	v_cndmask_b32_e64 v3, 0, 2, s[0:1]
	v_add_lshl_u32 v8, v3, v9, 2
	v_cmp_ne_u32_e64 s[0:1], 63, v10
	ds_bpermute_b32 v3, v8, v1
	ds_bpermute_b32 v4, v8, v2
	s_waitcnt lgkmcnt(0)
	v_add_f64 v[1:2], v[1:2], v[3:4]
	v_addc_co_u32_e64 v3, s[0:1], 0, v9, s[0:1]
	v_lshlrev_b32_e32 v9, 2, v3
	v_cmp_eq_u32_e64 s[0:1], 0, v6
	ds_bpermute_b32 v3, v9, v1
	ds_bpermute_b32 v4, v9, v2
	s_and_saveexec_b64 s[8:9], s[0:1]
	s_cbranch_execz .LBB18_8
; %bb.7:
	s_waitcnt lgkmcnt(0)
	v_add_f64 v[1:2], v[1:2], v[3:4]
	v_lshrrev_b32_e32 v3, 3, v0
	v_and_b32_e32 v3, 56, v3
	ds_write_b64 v3, v[1:2]
.LBB18_8:
	s_or_b64 exec, exec, s[8:9]
	v_mov_b32_e32 v1, 0
	v_mov_b32_e32 v2, 0
	v_cmp_gt_u32_e64 s[0:1], 8, v0
	s_waitcnt lgkmcnt(0)
	s_barrier
	s_and_saveexec_b64 s[8:9], s[0:1]
; %bb.9:
	ds_read_b64 v[1:2], v5
; %bb.10:
	s_or_b64 exec, exec, s[8:9]
	s_and_saveexec_b64 s[0:1], vcc
	s_cbranch_execz .LBB18_12
; %bb.11:
	s_waitcnt lgkmcnt(0)
	ds_bpermute_b32 v3, v7, v1
	ds_bpermute_b32 v4, v7, v2
	s_waitcnt lgkmcnt(0)
	v_add_f64 v[1:2], v[1:2], v[3:4]
	ds_bpermute_b32 v3, v8, v1
	ds_bpermute_b32 v4, v8, v2
	s_waitcnt lgkmcnt(0)
	v_add_f64 v[1:2], v[1:2], v[3:4]
	;; [unrolled: 4-line block ×3, first 2 shown]
.LBB18_12:
	s_or_b64 exec, exec, s[0:1]
	s_mov_b32 s1, 0
	v_cmp_eq_u32_e32 vcc, 0, v0
	s_and_saveexec_b64 s[8:9], vcc
	s_cbranch_execz .LBB18_14
; %bb.13:
	s_load_dwordx2 s[4:5], s[4:5], 0x30
	s_mul_i32 s0, s3, s7
	s_add_i32 s0, s0, s6
	s_lshl_b64 s[0:1], s[0:1], 3
	v_mov_b32_e32 v0, 0
	s_waitcnt lgkmcnt(0)
	s_add_u32 s0, s4, s0
	s_addc_u32 s1, s5, s1
	global_store_dwordx2 v0, v[1:2], s[0:1]
.LBB18_14:
	s_endpgm
	.section	.rodata,"a",@progbits
	.p2align	6, 0x0
	.amdhsa_kernel _ZL30rocblas_reduction_kernel_part1IiLi512ELi2E18rocblas_fetch_nrm2IdEPK19rocblas_complex_numIdEdEviiT3_lT_liPT4_
		.amdhsa_group_segment_fixed_size 512
		.amdhsa_private_segment_fixed_size 0
		.amdhsa_kernarg_size 312
		.amdhsa_user_sgpr_count 6
		.amdhsa_user_sgpr_private_segment_buffer 1
		.amdhsa_user_sgpr_dispatch_ptr 0
		.amdhsa_user_sgpr_queue_ptr 0
		.amdhsa_user_sgpr_kernarg_segment_ptr 1
		.amdhsa_user_sgpr_dispatch_id 0
		.amdhsa_user_sgpr_flat_scratch_init 0
		.amdhsa_user_sgpr_private_segment_size 0
		.amdhsa_uses_dynamic_stack 0
		.amdhsa_system_sgpr_private_segment_wavefront_offset 0
		.amdhsa_system_sgpr_workgroup_id_x 1
		.amdhsa_system_sgpr_workgroup_id_y 0
		.amdhsa_system_sgpr_workgroup_id_z 1
		.amdhsa_system_sgpr_workgroup_info 0
		.amdhsa_system_vgpr_workitem_id 0
		.amdhsa_next_free_vgpr 11
		.amdhsa_next_free_sgpr 21
		.amdhsa_reserve_vcc 1
		.amdhsa_reserve_flat_scratch 0
		.amdhsa_float_round_mode_32 0
		.amdhsa_float_round_mode_16_64 0
		.amdhsa_float_denorm_mode_32 3
		.amdhsa_float_denorm_mode_16_64 3
		.amdhsa_dx10_clamp 1
		.amdhsa_ieee_mode 1
		.amdhsa_fp16_overflow 0
		.amdhsa_exception_fp_ieee_invalid_op 0
		.amdhsa_exception_fp_denorm_src 0
		.amdhsa_exception_fp_ieee_div_zero 0
		.amdhsa_exception_fp_ieee_overflow 0
		.amdhsa_exception_fp_ieee_underflow 0
		.amdhsa_exception_fp_ieee_inexact 0
		.amdhsa_exception_int_div_zero 0
	.end_amdhsa_kernel
	.section	.text._ZL30rocblas_reduction_kernel_part1IiLi512ELi2E18rocblas_fetch_nrm2IdEPK19rocblas_complex_numIdEdEviiT3_lT_liPT4_,"axG",@progbits,_ZL30rocblas_reduction_kernel_part1IiLi512ELi2E18rocblas_fetch_nrm2IdEPK19rocblas_complex_numIdEdEviiT3_lT_liPT4_,comdat
.Lfunc_end18:
	.size	_ZL30rocblas_reduction_kernel_part1IiLi512ELi2E18rocblas_fetch_nrm2IdEPK19rocblas_complex_numIdEdEviiT3_lT_liPT4_, .Lfunc_end18-_ZL30rocblas_reduction_kernel_part1IiLi512ELi2E18rocblas_fetch_nrm2IdEPK19rocblas_complex_numIdEdEviiT3_lT_liPT4_
                                        ; -- End function
	.set _ZL30rocblas_reduction_kernel_part1IiLi512ELi2E18rocblas_fetch_nrm2IdEPK19rocblas_complex_numIdEdEviiT3_lT_liPT4_.num_vgpr, 11
	.set _ZL30rocblas_reduction_kernel_part1IiLi512ELi2E18rocblas_fetch_nrm2IdEPK19rocblas_complex_numIdEdEviiT3_lT_liPT4_.num_agpr, 0
	.set _ZL30rocblas_reduction_kernel_part1IiLi512ELi2E18rocblas_fetch_nrm2IdEPK19rocblas_complex_numIdEdEviiT3_lT_liPT4_.numbered_sgpr, 21
	.set _ZL30rocblas_reduction_kernel_part1IiLi512ELi2E18rocblas_fetch_nrm2IdEPK19rocblas_complex_numIdEdEviiT3_lT_liPT4_.num_named_barrier, 0
	.set _ZL30rocblas_reduction_kernel_part1IiLi512ELi2E18rocblas_fetch_nrm2IdEPK19rocblas_complex_numIdEdEviiT3_lT_liPT4_.private_seg_size, 0
	.set _ZL30rocblas_reduction_kernel_part1IiLi512ELi2E18rocblas_fetch_nrm2IdEPK19rocblas_complex_numIdEdEviiT3_lT_liPT4_.uses_vcc, 1
	.set _ZL30rocblas_reduction_kernel_part1IiLi512ELi2E18rocblas_fetch_nrm2IdEPK19rocblas_complex_numIdEdEviiT3_lT_liPT4_.uses_flat_scratch, 0
	.set _ZL30rocblas_reduction_kernel_part1IiLi512ELi2E18rocblas_fetch_nrm2IdEPK19rocblas_complex_numIdEdEviiT3_lT_liPT4_.has_dyn_sized_stack, 0
	.set _ZL30rocblas_reduction_kernel_part1IiLi512ELi2E18rocblas_fetch_nrm2IdEPK19rocblas_complex_numIdEdEviiT3_lT_liPT4_.has_recursion, 0
	.set _ZL30rocblas_reduction_kernel_part1IiLi512ELi2E18rocblas_fetch_nrm2IdEPK19rocblas_complex_numIdEdEviiT3_lT_liPT4_.has_indirect_call, 0
	.section	.AMDGPU.csdata,"",@progbits
; Kernel info:
; codeLenInByte = 928
; TotalNumSgprs: 25
; NumVgprs: 11
; ScratchSize: 0
; MemoryBound: 0
; FloatMode: 240
; IeeeMode: 1
; LDSByteSize: 512 bytes/workgroup (compile time only)
; SGPRBlocks: 3
; VGPRBlocks: 2
; NumSGPRsForWavesPerEU: 25
; NumVGPRsForWavesPerEU: 11
; Occupancy: 10
; WaveLimiterHint : 0
; COMPUTE_PGM_RSRC2:SCRATCH_EN: 0
; COMPUTE_PGM_RSRC2:USER_SGPR: 6
; COMPUTE_PGM_RSRC2:TRAP_HANDLER: 0
; COMPUTE_PGM_RSRC2:TGID_X_EN: 1
; COMPUTE_PGM_RSRC2:TGID_Y_EN: 0
; COMPUTE_PGM_RSRC2:TGID_Z_EN: 1
; COMPUTE_PGM_RSRC2:TIDIG_COMP_CNT: 0
	.section	.text._ZL30rocblas_reduction_kernel_part1IiLi512ELi2E18rocblas_fetch_nrm2IdEPKPK19rocblas_complex_numIdEdEviiT3_lT_liPT4_,"axG",@progbits,_ZL30rocblas_reduction_kernel_part1IiLi512ELi2E18rocblas_fetch_nrm2IdEPKPK19rocblas_complex_numIdEdEviiT3_lT_liPT4_,comdat
	.globl	_ZL30rocblas_reduction_kernel_part1IiLi512ELi2E18rocblas_fetch_nrm2IdEPKPK19rocblas_complex_numIdEdEviiT3_lT_liPT4_ ; -- Begin function _ZL30rocblas_reduction_kernel_part1IiLi512ELi2E18rocblas_fetch_nrm2IdEPKPK19rocblas_complex_numIdEdEviiT3_lT_liPT4_
	.p2align	8
	.type	_ZL30rocblas_reduction_kernel_part1IiLi512ELi2E18rocblas_fetch_nrm2IdEPKPK19rocblas_complex_numIdEdEviiT3_lT_liPT4_,@function
_ZL30rocblas_reduction_kernel_part1IiLi512ELi2E18rocblas_fetch_nrm2IdEPKPK19rocblas_complex_numIdEdEviiT3_lT_liPT4_: ; @_ZL30rocblas_reduction_kernel_part1IiLi512ELi2E18rocblas_fetch_nrm2IdEPKPK19rocblas_complex_numIdEdEviiT3_lT_liPT4_
; %bb.0:
	s_load_dwordx2 s[8:9], s[4:5], 0x0
	v_lshl_or_b32 v3, s6, 9, v0
	v_mov_b32_e32 v4, 0
	v_mov_b32_e32 v1, 0
	s_mov_b32 s2, s7
	s_waitcnt lgkmcnt(0)
	s_ashr_i32 s11, s8, 31
	s_mov_b32 s10, s8
	v_cmp_gt_i64_e32 vcc, s[10:11], v[3:4]
	v_mov_b32_e32 v2, 0
	s_and_saveexec_b64 s[0:1], vcc
	s_cbranch_execz .LBB19_4
; %bb.1:
	s_load_dword s7, s[4:5], 0x18
	s_load_dwordx4 s[12:15], s[4:5], 0x8
	s_load_dword s20, s[4:5], 0x38
	s_mov_b32 s3, 0
	s_lshl_b64 s[16:17], s[2:3], 3
	s_waitcnt lgkmcnt(0)
	v_mad_u64_u32 v[1:2], s[18:19], v3, s7, 0
	s_ashr_i32 s3, s7, 31
	s_add_u32 s12, s12, s16
	s_addc_u32 s13, s13, s17
	s_load_dwordx2 s[12:13], s[12:13], 0x0
	v_mad_u64_u32 v[4:5], s[16:17], v3, s3, v[2:3]
	s_lshl_b64 s[14:15], s[14:15], 4
	v_mov_b32_e32 v2, v4
	s_waitcnt lgkmcnt(0)
	s_add_u32 s8, s12, s14
	v_lshlrev_b64 v[1:2], 4, v[1:2]
	s_addc_u32 s12, s13, s15
	v_mov_b32_e32 v4, s12
	v_add_co_u32_e32 v1, vcc, s8, v1
	v_addc_co_u32_e32 v2, vcc, v4, v2, vcc
	flat_load_dwordx4 v[4:7], v[1:2]
	s_lshl_b32 s13, s20, 9
	s_ashr_i32 s14, s13, 31
	v_add_co_u32_e32 v3, vcc, s13, v3
	s_waitcnt vmcnt(0) lgkmcnt(0)
	v_mul_f64 v[1:2], v[6:7], v[6:7]
	v_fma_f64 v[1:2], v[4:5], v[4:5], v[1:2]
	v_mov_b32_e32 v4, s14
	v_addc_co_u32_e32 v4, vcc, 0, v4, vcc
	v_cmp_gt_i64_e32 vcc, s[10:11], v[3:4]
	s_and_saveexec_b64 s[10:11], vcc
	s_cbranch_execz .LBB19_3
; %bb.2:
	v_mul_lo_u32 v5, v4, s7
	v_mul_lo_u32 v6, v3, s3
	v_mad_u64_u32 v[3:4], s[14:15], v3, s7, 0
	v_add3_u32 v4, v4, v6, v5
	v_lshlrev_b64 v[3:4], 4, v[3:4]
	v_mov_b32_e32 v5, s12
	v_add_co_u32_e32 v3, vcc, s8, v3
	v_addc_co_u32_e32 v4, vcc, v5, v4, vcc
	flat_load_dwordx4 v[3:6], v[3:4]
	s_waitcnt vmcnt(0) lgkmcnt(0)
	v_mul_f64 v[5:6], v[5:6], v[5:6]
	v_fma_f64 v[3:4], v[3:4], v[3:4], v[5:6]
	v_add_f64 v[1:2], v[1:2], v[3:4]
.LBB19_3:
	s_or_b64 exec, exec, s[10:11]
.LBB19_4:
	s_or_b64 exec, exec, s[0:1]
	v_and_b32_e32 v6, 63, v0
	v_cmp_gt_u32_e32 vcc, 64, v0
	v_lshlrev_b32_e32 v5, 3, v6
	s_and_saveexec_b64 s[0:1], vcc
; %bb.5:
	v_mov_b32_e32 v3, 0
	v_mov_b32_e32 v4, v3
	ds_write_b64 v5, v[3:4]
; %bb.6:
	s_or_b64 exec, exec, s[0:1]
	v_mbcnt_lo_u32_b32 v3, -1, 0
	v_mbcnt_hi_u32_b32 v9, -1, v3
	v_mov_b32_e32 v3, 0x80
	v_lshl_or_b32 v4, v9, 2, v3
	ds_bpermute_b32 v3, v4, v1
	ds_bpermute_b32 v4, v4, v2
	v_and_b32_e32 v10, 63, v9
	v_cmp_gt_u32_e64 s[0:1], 48, v10
	s_waitcnt lgkmcnt(0)
	s_barrier
	v_add_f64 v[1:2], v[1:2], v[3:4]
	v_cndmask_b32_e64 v3, 0, 16, s[0:1]
	v_add_lshl_u32 v4, v3, v9, 2
	v_cmp_gt_u32_e64 s[0:1], 56, v10
	ds_bpermute_b32 v3, v4, v1
	ds_bpermute_b32 v4, v4, v2
	s_waitcnt lgkmcnt(0)
	v_add_f64 v[1:2], v[1:2], v[3:4]
	v_cndmask_b32_e64 v3, 0, 8, s[0:1]
	v_add_lshl_u32 v4, v3, v9, 2
	v_cmp_gt_u32_e64 s[0:1], 60, v10
	ds_bpermute_b32 v3, v4, v1
	ds_bpermute_b32 v4, v4, v2
	s_waitcnt lgkmcnt(0)
	;; [unrolled: 7-line block ×3, first 2 shown]
	v_add_f64 v[1:2], v[1:2], v[3:4]
	v_cndmask_b32_e64 v3, 0, 2, s[0:1]
	v_add_lshl_u32 v8, v3, v9, 2
	v_cmp_ne_u32_e64 s[0:1], 63, v10
	ds_bpermute_b32 v3, v8, v1
	ds_bpermute_b32 v4, v8, v2
	s_waitcnt lgkmcnt(0)
	v_add_f64 v[1:2], v[1:2], v[3:4]
	v_addc_co_u32_e64 v3, s[0:1], 0, v9, s[0:1]
	v_lshlrev_b32_e32 v9, 2, v3
	v_cmp_eq_u32_e64 s[0:1], 0, v6
	ds_bpermute_b32 v3, v9, v1
	ds_bpermute_b32 v4, v9, v2
	s_and_saveexec_b64 s[10:11], s[0:1]
	s_cbranch_execz .LBB19_8
; %bb.7:
	s_waitcnt lgkmcnt(0)
	v_add_f64 v[1:2], v[1:2], v[3:4]
	v_lshrrev_b32_e32 v3, 3, v0
	v_and_b32_e32 v3, 56, v3
	ds_write_b64 v3, v[1:2]
.LBB19_8:
	s_or_b64 exec, exec, s[10:11]
	v_mov_b32_e32 v1, 0
	v_mov_b32_e32 v2, 0
	v_cmp_gt_u32_e64 s[0:1], 8, v0
	s_waitcnt lgkmcnt(0)
	s_barrier
	s_and_saveexec_b64 s[10:11], s[0:1]
; %bb.9:
	ds_read_b64 v[1:2], v5
; %bb.10:
	s_or_b64 exec, exec, s[10:11]
	s_and_saveexec_b64 s[0:1], vcc
	s_cbranch_execz .LBB19_12
; %bb.11:
	s_waitcnt lgkmcnt(0)
	ds_bpermute_b32 v3, v7, v1
	ds_bpermute_b32 v4, v7, v2
	s_waitcnt lgkmcnt(0)
	v_add_f64 v[1:2], v[1:2], v[3:4]
	ds_bpermute_b32 v3, v8, v1
	ds_bpermute_b32 v4, v8, v2
	s_waitcnt lgkmcnt(0)
	v_add_f64 v[1:2], v[1:2], v[3:4]
	;; [unrolled: 4-line block ×3, first 2 shown]
.LBB19_12:
	s_or_b64 exec, exec, s[0:1]
	s_mov_b32 s1, 0
	v_cmp_eq_u32_e32 vcc, 0, v0
	s_and_saveexec_b64 s[10:11], vcc
	s_cbranch_execz .LBB19_14
; %bb.13:
	s_load_dwordx2 s[4:5], s[4:5], 0x30
	s_mul_i32 s0, s9, s2
	s_add_i32 s0, s0, s6
	s_lshl_b64 s[0:1], s[0:1], 3
	v_mov_b32_e32 v0, 0
	s_waitcnt lgkmcnt(0)
	s_add_u32 s0, s4, s0
	s_addc_u32 s1, s5, s1
	global_store_dwordx2 v0, v[1:2], s[0:1]
.LBB19_14:
	s_endpgm
	.section	.rodata,"a",@progbits
	.p2align	6, 0x0
	.amdhsa_kernel _ZL30rocblas_reduction_kernel_part1IiLi512ELi2E18rocblas_fetch_nrm2IdEPKPK19rocblas_complex_numIdEdEviiT3_lT_liPT4_
		.amdhsa_group_segment_fixed_size 512
		.amdhsa_private_segment_fixed_size 0
		.amdhsa_kernarg_size 312
		.amdhsa_user_sgpr_count 6
		.amdhsa_user_sgpr_private_segment_buffer 1
		.amdhsa_user_sgpr_dispatch_ptr 0
		.amdhsa_user_sgpr_queue_ptr 0
		.amdhsa_user_sgpr_kernarg_segment_ptr 1
		.amdhsa_user_sgpr_dispatch_id 0
		.amdhsa_user_sgpr_flat_scratch_init 0
		.amdhsa_user_sgpr_private_segment_size 0
		.amdhsa_uses_dynamic_stack 0
		.amdhsa_system_sgpr_private_segment_wavefront_offset 0
		.amdhsa_system_sgpr_workgroup_id_x 1
		.amdhsa_system_sgpr_workgroup_id_y 0
		.amdhsa_system_sgpr_workgroup_id_z 1
		.amdhsa_system_sgpr_workgroup_info 0
		.amdhsa_system_vgpr_workitem_id 0
		.amdhsa_next_free_vgpr 11
		.amdhsa_next_free_sgpr 21
		.amdhsa_reserve_vcc 1
		.amdhsa_reserve_flat_scratch 0
		.amdhsa_float_round_mode_32 0
		.amdhsa_float_round_mode_16_64 0
		.amdhsa_float_denorm_mode_32 3
		.amdhsa_float_denorm_mode_16_64 3
		.amdhsa_dx10_clamp 1
		.amdhsa_ieee_mode 1
		.amdhsa_fp16_overflow 0
		.amdhsa_exception_fp_ieee_invalid_op 0
		.amdhsa_exception_fp_denorm_src 0
		.amdhsa_exception_fp_ieee_div_zero 0
		.amdhsa_exception_fp_ieee_overflow 0
		.amdhsa_exception_fp_ieee_underflow 0
		.amdhsa_exception_fp_ieee_inexact 0
		.amdhsa_exception_int_div_zero 0
	.end_amdhsa_kernel
	.section	.text._ZL30rocblas_reduction_kernel_part1IiLi512ELi2E18rocblas_fetch_nrm2IdEPKPK19rocblas_complex_numIdEdEviiT3_lT_liPT4_,"axG",@progbits,_ZL30rocblas_reduction_kernel_part1IiLi512ELi2E18rocblas_fetch_nrm2IdEPKPK19rocblas_complex_numIdEdEviiT3_lT_liPT4_,comdat
.Lfunc_end19:
	.size	_ZL30rocblas_reduction_kernel_part1IiLi512ELi2E18rocblas_fetch_nrm2IdEPKPK19rocblas_complex_numIdEdEviiT3_lT_liPT4_, .Lfunc_end19-_ZL30rocblas_reduction_kernel_part1IiLi512ELi2E18rocblas_fetch_nrm2IdEPKPK19rocblas_complex_numIdEdEviiT3_lT_liPT4_
                                        ; -- End function
	.set _ZL30rocblas_reduction_kernel_part1IiLi512ELi2E18rocblas_fetch_nrm2IdEPKPK19rocblas_complex_numIdEdEviiT3_lT_liPT4_.num_vgpr, 11
	.set _ZL30rocblas_reduction_kernel_part1IiLi512ELi2E18rocblas_fetch_nrm2IdEPKPK19rocblas_complex_numIdEdEviiT3_lT_liPT4_.num_agpr, 0
	.set _ZL30rocblas_reduction_kernel_part1IiLi512ELi2E18rocblas_fetch_nrm2IdEPKPK19rocblas_complex_numIdEdEviiT3_lT_liPT4_.numbered_sgpr, 21
	.set _ZL30rocblas_reduction_kernel_part1IiLi512ELi2E18rocblas_fetch_nrm2IdEPKPK19rocblas_complex_numIdEdEviiT3_lT_liPT4_.num_named_barrier, 0
	.set _ZL30rocblas_reduction_kernel_part1IiLi512ELi2E18rocblas_fetch_nrm2IdEPKPK19rocblas_complex_numIdEdEviiT3_lT_liPT4_.private_seg_size, 0
	.set _ZL30rocblas_reduction_kernel_part1IiLi512ELi2E18rocblas_fetch_nrm2IdEPKPK19rocblas_complex_numIdEdEviiT3_lT_liPT4_.uses_vcc, 1
	.set _ZL30rocblas_reduction_kernel_part1IiLi512ELi2E18rocblas_fetch_nrm2IdEPKPK19rocblas_complex_numIdEdEviiT3_lT_liPT4_.uses_flat_scratch, 0
	.set _ZL30rocblas_reduction_kernel_part1IiLi512ELi2E18rocblas_fetch_nrm2IdEPKPK19rocblas_complex_numIdEdEviiT3_lT_liPT4_.has_dyn_sized_stack, 0
	.set _ZL30rocblas_reduction_kernel_part1IiLi512ELi2E18rocblas_fetch_nrm2IdEPKPK19rocblas_complex_numIdEdEviiT3_lT_liPT4_.has_recursion, 0
	.set _ZL30rocblas_reduction_kernel_part1IiLi512ELi2E18rocblas_fetch_nrm2IdEPKPK19rocblas_complex_numIdEdEviiT3_lT_liPT4_.has_indirect_call, 0
	.section	.AMDGPU.csdata,"",@progbits
; Kernel info:
; codeLenInByte = 924
; TotalNumSgprs: 25
; NumVgprs: 11
; ScratchSize: 0
; MemoryBound: 0
; FloatMode: 240
; IeeeMode: 1
; LDSByteSize: 512 bytes/workgroup (compile time only)
; SGPRBlocks: 3
; VGPRBlocks: 2
; NumSGPRsForWavesPerEU: 25
; NumVGPRsForWavesPerEU: 11
; Occupancy: 10
; WaveLimiterHint : 1
; COMPUTE_PGM_RSRC2:SCRATCH_EN: 0
; COMPUTE_PGM_RSRC2:USER_SGPR: 6
; COMPUTE_PGM_RSRC2:TRAP_HANDLER: 0
; COMPUTE_PGM_RSRC2:TGID_X_EN: 1
; COMPUTE_PGM_RSRC2:TGID_Y_EN: 0
; COMPUTE_PGM_RSRC2:TGID_Z_EN: 1
; COMPUTE_PGM_RSRC2:TIDIG_COMP_CNT: 0
	.section	.text._ZL30rocblas_reduction_kernel_part1IiLi512ELi4E18rocblas_fetch_nrm2IfEPKDF16_fEviiT3_lT_liPT4_,"axG",@progbits,_ZL30rocblas_reduction_kernel_part1IiLi512ELi4E18rocblas_fetch_nrm2IfEPKDF16_fEviiT3_lT_liPT4_,comdat
	.globl	_ZL30rocblas_reduction_kernel_part1IiLi512ELi4E18rocblas_fetch_nrm2IfEPKDF16_fEviiT3_lT_liPT4_ ; -- Begin function _ZL30rocblas_reduction_kernel_part1IiLi512ELi4E18rocblas_fetch_nrm2IfEPKDF16_fEviiT3_lT_liPT4_
	.p2align	8
	.type	_ZL30rocblas_reduction_kernel_part1IiLi512ELi4E18rocblas_fetch_nrm2IfEPKDF16_fEviiT3_lT_liPT4_,@function
_ZL30rocblas_reduction_kernel_part1IiLi512ELi4E18rocblas_fetch_nrm2IfEPKDF16_fEviiT3_lT_liPT4_: ; @_ZL30rocblas_reduction_kernel_part1IiLi512ELi4E18rocblas_fetch_nrm2IfEPKDF16_fEviiT3_lT_liPT4_
; %bb.0:
	s_load_dwordx2 s[2:3], s[4:5], 0x0
	v_lshl_or_b32 v1, s6, 9, v0
	v_mov_b32_e32 v2, 0
	s_waitcnt lgkmcnt(0)
	s_ashr_i32 s9, s2, 31
	s_mov_b32 s8, s2
	v_cmp_gt_i64_e32 vcc, s[8:9], v[1:2]
	s_mov_b32 s2, 0
	s_and_saveexec_b64 s[10:11], vcc
	s_cbranch_execz .LBB20_4
; %bb.1:
	s_load_dword s17, s[4:5], 0x18
	s_load_dword s16, s[4:5], 0x38
	s_load_dwordx4 s[12:15], s[4:5], 0x8
	s_load_dwordx2 s[0:1], s[4:5], 0x20
	s_waitcnt lgkmcnt(0)
	v_mad_u64_u32 v[5:6], s[18:19], s17, v1, 0
	s_lshl_b32 s16, s16, 9
	s_ashr_i32 s21, s16, 31
	v_mov_b32_e32 v2, s21
	v_add_co_u32_e32 v3, vcc, s16, v1
	s_ashr_i32 s20, s17, 31
	v_addc_co_u32_e32 v4, vcc, 0, v2, vcc
	v_mov_b32_e32 v2, v6
	s_mul_i32 s1, s1, s7
	s_mul_hi_u32 s22, s0, s7
	v_mad_u64_u32 v[1:2], s[18:19], s20, v1, v[2:3]
	s_add_i32 s1, s22, s1
	s_mul_i32 s0, s0, s7
	s_lshl_b64 s[0:1], s[0:1], 1
	s_lshl_b64 s[14:15], s[14:15], 1
	s_add_u32 s12, s12, s14
	v_mov_b32_e32 v6, v1
	s_addc_u32 s13, s13, s15
	v_lshlrev_b64 v[1:2], 1, v[5:6]
	s_add_u32 s0, s12, s0
	s_addc_u32 s1, s13, s1
	v_mov_b32_e32 v6, s1
	v_add_co_u32_e32 v5, vcc, s0, v1
	s_mul_hi_i32 s1, s17, s16
	s_mul_i32 s0, s17, s16
	s_lshl_b64 s[12:13], s[0:1], 1
	v_addc_co_u32_e32 v6, vcc, v6, v2, vcc
	v_mov_b32_e32 v2, 0
	s_mov_b64 s[14:15], 0
	v_mov_b32_e32 v1, s21
	v_mov_b32_e32 v7, s13
.LBB20_2:                               ; =>This Inner Loop Header: Depth=1
	global_load_ushort v8, v[5:6], off
	v_cmp_le_i64_e32 vcc, s[8:9], v[3:4]
	v_add_co_u32_e64 v3, s[0:1], s16, v3
	v_addc_co_u32_e64 v4, s[0:1], v4, v1, s[0:1]
	s_add_i32 s13, s2, 1
	v_add_co_u32_e64 v5, s[0:1], s12, v5
	v_addc_co_u32_e64 v6, s[0:1], v6, v7, s[0:1]
	s_cmp_gt_u32 s2, 2
	s_cselect_b64 s[0:1], -1, 0
	s_or_b64 s[0:1], s[0:1], vcc
	s_and_b64 s[0:1], exec, s[0:1]
	s_mov_b32 s2, s13
	s_or_b64 s[14:15], s[0:1], s[14:15]
	s_waitcnt vmcnt(0)
	v_mul_f16_e32 v8, v8, v8
	v_cvt_f32_f16_e32 v8, v8
	v_add_f32_e32 v2, v2, v8
	s_andn2_b64 exec, exec, s[14:15]
	s_cbranch_execnz .LBB20_2
; %bb.3:
	s_or_b64 exec, exec, s[14:15]
.LBB20_4:
	s_or_b64 exec, exec, s[10:11]
	v_and_b32_e32 v3, 63, v0
	v_cmp_gt_u32_e32 vcc, 64, v0
	v_lshlrev_b32_e32 v1, 2, v3
	s_and_saveexec_b64 s[0:1], vcc
; %bb.5:
	v_mov_b32_e32 v4, 0
	ds_write_b32 v1, v4
; %bb.6:
	s_or_b64 exec, exec, s[0:1]
	v_mbcnt_lo_u32_b32 v4, -1, 0
	v_mbcnt_hi_u32_b32 v5, -1, v4
	v_mov_b32_e32 v4, 0x80
	v_lshl_or_b32 v4, v5, 2, v4
	ds_bpermute_b32 v4, v4, v2
	v_and_b32_e32 v6, 63, v5
	v_cmp_gt_u32_e64 s[0:1], 48, v6
	v_cndmask_b32_e64 v7, 0, 16, s[0:1]
	v_cmp_gt_u32_e64 s[0:1], 56, v6
	s_waitcnt lgkmcnt(0)
	v_add_f32_e32 v2, v2, v4
	v_add_lshl_u32 v4, v7, v5, 2
	ds_bpermute_b32 v4, v4, v2
	v_cndmask_b32_e64 v7, 0, 8, s[0:1]
	v_add_lshl_u32 v7, v7, v5, 2
	v_cmp_gt_u32_e64 s[0:1], 60, v6
	s_waitcnt lgkmcnt(0)
	v_add_f32_e32 v4, v2, v4
	ds_bpermute_b32 v7, v7, v4
	v_cndmask_b32_e64 v2, 0, 4, s[0:1]
	v_add_lshl_u32 v2, v2, v5, 2
	v_cmp_gt_u32_e64 s[0:1], 62, v6
	s_waitcnt lgkmcnt(0)
	s_barrier
	v_add_f32_e32 v7, v4, v7
	ds_bpermute_b32 v8, v2, v7
	v_cndmask_b32_e64 v4, 0, 2, s[0:1]
	v_add_lshl_u32 v4, v4, v5, 2
	v_cmp_ne_u32_e64 s[0:1], 63, v6
	v_addc_co_u32_e64 v5, s[0:1], 0, v5, s[0:1]
	s_waitcnt lgkmcnt(0)
	v_add_f32_e32 v7, v7, v8
	ds_bpermute_b32 v8, v4, v7
	v_lshlrev_b32_e32 v5, 2, v5
	v_cmp_eq_u32_e64 s[0:1], 0, v3
	s_waitcnt lgkmcnt(0)
	v_add_f32_e32 v6, v7, v8
	ds_bpermute_b32 v7, v5, v6
	s_and_saveexec_b64 s[8:9], s[0:1]
	s_cbranch_execz .LBB20_8
; %bb.7:
	s_waitcnt lgkmcnt(0)
	v_add_f32_e32 v3, v6, v7
	v_lshrrev_b32_e32 v6, 4, v0
	v_and_b32_e32 v6, 28, v6
	ds_write_b32 v6, v3
.LBB20_8:
	s_or_b64 exec, exec, s[8:9]
	v_cmp_gt_u32_e64 s[0:1], 8, v0
	v_mov_b32_e32 v3, 0
	s_waitcnt lgkmcnt(0)
	s_barrier
	s_and_saveexec_b64 s[8:9], s[0:1]
; %bb.9:
	ds_read_b32 v3, v1
; %bb.10:
	s_or_b64 exec, exec, s[8:9]
	s_and_saveexec_b64 s[0:1], vcc
	s_cbranch_execz .LBB20_12
; %bb.11:
	s_waitcnt lgkmcnt(0)
	ds_bpermute_b32 v1, v2, v3
	s_waitcnt lgkmcnt(0)
	v_add_f32_e32 v1, v3, v1
	ds_bpermute_b32 v2, v4, v1
	s_waitcnt lgkmcnt(0)
	v_add_f32_e32 v1, v1, v2
	;; [unrolled: 3-line block ×3, first 2 shown]
.LBB20_12:
	s_or_b64 exec, exec, s[0:1]
	s_mov_b32 s1, 0
	v_cmp_eq_u32_e32 vcc, 0, v0
	s_and_saveexec_b64 s[8:9], vcc
	s_cbranch_execz .LBB20_14
; %bb.13:
	s_load_dwordx2 s[4:5], s[4:5], 0x30
	s_mul_i32 s0, s3, s7
	s_add_i32 s0, s0, s6
	s_lshl_b64 s[0:1], s[0:1], 2
	v_mov_b32_e32 v0, 0
	s_waitcnt lgkmcnt(0)
	s_add_u32 s0, s4, s0
	s_addc_u32 s1, s5, s1
	global_store_dword v0, v3, s[0:1]
.LBB20_14:
	s_endpgm
	.section	.rodata,"a",@progbits
	.p2align	6, 0x0
	.amdhsa_kernel _ZL30rocblas_reduction_kernel_part1IiLi512ELi4E18rocblas_fetch_nrm2IfEPKDF16_fEviiT3_lT_liPT4_
		.amdhsa_group_segment_fixed_size 256
		.amdhsa_private_segment_fixed_size 0
		.amdhsa_kernarg_size 312
		.amdhsa_user_sgpr_count 6
		.amdhsa_user_sgpr_private_segment_buffer 1
		.amdhsa_user_sgpr_dispatch_ptr 0
		.amdhsa_user_sgpr_queue_ptr 0
		.amdhsa_user_sgpr_kernarg_segment_ptr 1
		.amdhsa_user_sgpr_dispatch_id 0
		.amdhsa_user_sgpr_flat_scratch_init 0
		.amdhsa_user_sgpr_private_segment_size 0
		.amdhsa_uses_dynamic_stack 0
		.amdhsa_system_sgpr_private_segment_wavefront_offset 0
		.amdhsa_system_sgpr_workgroup_id_x 1
		.amdhsa_system_sgpr_workgroup_id_y 0
		.amdhsa_system_sgpr_workgroup_id_z 1
		.amdhsa_system_sgpr_workgroup_info 0
		.amdhsa_system_vgpr_workitem_id 0
		.amdhsa_next_free_vgpr 9
		.amdhsa_next_free_sgpr 23
		.amdhsa_reserve_vcc 1
		.amdhsa_reserve_flat_scratch 0
		.amdhsa_float_round_mode_32 0
		.amdhsa_float_round_mode_16_64 0
		.amdhsa_float_denorm_mode_32 3
		.amdhsa_float_denorm_mode_16_64 3
		.amdhsa_dx10_clamp 1
		.amdhsa_ieee_mode 1
		.amdhsa_fp16_overflow 0
		.amdhsa_exception_fp_ieee_invalid_op 0
		.amdhsa_exception_fp_denorm_src 0
		.amdhsa_exception_fp_ieee_div_zero 0
		.amdhsa_exception_fp_ieee_overflow 0
		.amdhsa_exception_fp_ieee_underflow 0
		.amdhsa_exception_fp_ieee_inexact 0
		.amdhsa_exception_int_div_zero 0
	.end_amdhsa_kernel
	.section	.text._ZL30rocblas_reduction_kernel_part1IiLi512ELi4E18rocblas_fetch_nrm2IfEPKDF16_fEviiT3_lT_liPT4_,"axG",@progbits,_ZL30rocblas_reduction_kernel_part1IiLi512ELi4E18rocblas_fetch_nrm2IfEPKDF16_fEviiT3_lT_liPT4_,comdat
.Lfunc_end20:
	.size	_ZL30rocblas_reduction_kernel_part1IiLi512ELi4E18rocblas_fetch_nrm2IfEPKDF16_fEviiT3_lT_liPT4_, .Lfunc_end20-_ZL30rocblas_reduction_kernel_part1IiLi512ELi4E18rocblas_fetch_nrm2IfEPKDF16_fEviiT3_lT_liPT4_
                                        ; -- End function
	.set _ZL30rocblas_reduction_kernel_part1IiLi512ELi4E18rocblas_fetch_nrm2IfEPKDF16_fEviiT3_lT_liPT4_.num_vgpr, 9
	.set _ZL30rocblas_reduction_kernel_part1IiLi512ELi4E18rocblas_fetch_nrm2IfEPKDF16_fEviiT3_lT_liPT4_.num_agpr, 0
	.set _ZL30rocblas_reduction_kernel_part1IiLi512ELi4E18rocblas_fetch_nrm2IfEPKDF16_fEviiT3_lT_liPT4_.numbered_sgpr, 23
	.set _ZL30rocblas_reduction_kernel_part1IiLi512ELi4E18rocblas_fetch_nrm2IfEPKDF16_fEviiT3_lT_liPT4_.num_named_barrier, 0
	.set _ZL30rocblas_reduction_kernel_part1IiLi512ELi4E18rocblas_fetch_nrm2IfEPKDF16_fEviiT3_lT_liPT4_.private_seg_size, 0
	.set _ZL30rocblas_reduction_kernel_part1IiLi512ELi4E18rocblas_fetch_nrm2IfEPKDF16_fEviiT3_lT_liPT4_.uses_vcc, 1
	.set _ZL30rocblas_reduction_kernel_part1IiLi512ELi4E18rocblas_fetch_nrm2IfEPKDF16_fEviiT3_lT_liPT4_.uses_flat_scratch, 0
	.set _ZL30rocblas_reduction_kernel_part1IiLi512ELi4E18rocblas_fetch_nrm2IfEPKDF16_fEviiT3_lT_liPT4_.has_dyn_sized_stack, 0
	.set _ZL30rocblas_reduction_kernel_part1IiLi512ELi4E18rocblas_fetch_nrm2IfEPKDF16_fEviiT3_lT_liPT4_.has_recursion, 0
	.set _ZL30rocblas_reduction_kernel_part1IiLi512ELi4E18rocblas_fetch_nrm2IfEPKDF16_fEviiT3_lT_liPT4_.has_indirect_call, 0
	.section	.AMDGPU.csdata,"",@progbits
; Kernel info:
; codeLenInByte = 808
; TotalNumSgprs: 27
; NumVgprs: 9
; ScratchSize: 0
; MemoryBound: 0
; FloatMode: 240
; IeeeMode: 1
; LDSByteSize: 256 bytes/workgroup (compile time only)
; SGPRBlocks: 3
; VGPRBlocks: 2
; NumSGPRsForWavesPerEU: 27
; NumVGPRsForWavesPerEU: 9
; Occupancy: 10
; WaveLimiterHint : 0
; COMPUTE_PGM_RSRC2:SCRATCH_EN: 0
; COMPUTE_PGM_RSRC2:USER_SGPR: 6
; COMPUTE_PGM_RSRC2:TRAP_HANDLER: 0
; COMPUTE_PGM_RSRC2:TGID_X_EN: 1
; COMPUTE_PGM_RSRC2:TGID_Y_EN: 0
; COMPUTE_PGM_RSRC2:TGID_Z_EN: 1
; COMPUTE_PGM_RSRC2:TIDIG_COMP_CNT: 0
	.section	.text._ZL30rocblas_reduction_kernel_part2ILi512ELi4E21rocblas_finalize_nrm2fDF16_EviPT2_PT3_,"axG",@progbits,_ZL30rocblas_reduction_kernel_part2ILi512ELi4E21rocblas_finalize_nrm2fDF16_EviPT2_PT3_,comdat
	.globl	_ZL30rocblas_reduction_kernel_part2ILi512ELi4E21rocblas_finalize_nrm2fDF16_EviPT2_PT3_ ; -- Begin function _ZL30rocblas_reduction_kernel_part2ILi512ELi4E21rocblas_finalize_nrm2fDF16_EviPT2_PT3_
	.p2align	8
	.type	_ZL30rocblas_reduction_kernel_part2ILi512ELi4E21rocblas_finalize_nrm2fDF16_EviPT2_PT3_,@function
_ZL30rocblas_reduction_kernel_part2ILi512ELi4E21rocblas_finalize_nrm2fDF16_EviPT2_PT3_: ; @_ZL30rocblas_reduction_kernel_part2ILi512ELi4E21rocblas_finalize_nrm2fDF16_EviPT2_PT3_
; %bb.0:
	s_load_dword s12, s[4:5], 0x0
	s_load_dwordx4 s[0:3], s[4:5], 0x8
	v_lshlrev_b32_e32 v4, 2, v0
	s_mov_b32 s7, 0
	v_mov_b32_e32 v3, 0
	s_waitcnt lgkmcnt(0)
	s_ashr_i32 s8, s12, 31
	s_mul_i32 s5, s8, s6
	s_lshr_b32 s8, s8, 30
	s_add_i32 s8, s12, s8
	s_mul_hi_u32 s4, s12, s6
	s_and_b32 s13, s8, -4
	s_add_i32 s5, s4, s5
	s_mul_i32 s4, s12, s6
	v_cmp_gt_i32_e32 vcc, s13, v4
	s_and_saveexec_b64 s[8:9], vcc
	s_cbranch_execz .LBB21_4
; %bb.1:
	s_lshl_b64 s[10:11], s[4:5], 2
	s_add_u32 s10, s0, s10
	v_lshlrev_b32_e32 v1, 4, v0
	s_addc_u32 s11, s1, s11
	v_mov_b32_e32 v2, s11
	v_add_co_u32_e32 v1, vcc, s10, v1
	v_addc_co_u32_e32 v2, vcc, 0, v2, vcc
	v_add_co_u32_e32 v1, vcc, 8, v1
	v_mov_b32_e32 v3, 0
	v_addc_co_u32_e32 v2, vcc, 0, v2, vcc
	s_mov_b64 s[10:11], 0
.LBB21_2:                               ; =>This Inner Loop Header: Depth=1
	global_load_dwordx4 v[5:8], v[1:2], off offset:-8
	v_add_co_u32_e32 v1, vcc, 0x2000, v1
	v_add_u32_e32 v4, 0x800, v4
	v_addc_co_u32_e32 v2, vcc, 0, v2, vcc
	v_cmp_le_i32_e32 vcc, s13, v4
	s_or_b64 s[10:11], vcc, s[10:11]
	s_waitcnt vmcnt(0)
	v_add_f32_e32 v3, v3, v5
	v_add_f32_e32 v3, v3, v6
	;; [unrolled: 1-line block ×4, first 2 shown]
	s_andn2_b64 exec, exec, s[10:11]
	s_cbranch_execnz .LBB21_2
; %bb.3:
	s_or_b64 exec, exec, s[10:11]
.LBB21_4:
	s_or_b64 exec, exec, s[8:9]
	s_sub_i32 s8, s12, s13
	v_cmp_gt_u32_e32 vcc, s8, v0
	s_and_saveexec_b64 s[8:9], vcc
	s_cbranch_execz .LBB21_6
; %bb.5:
	s_lshl_b64 s[4:5], s[4:5], 2
	v_xad_u32 v1, v0, -1, s12
	v_mov_b32_e32 v2, 0
	s_add_u32 s0, s0, s4
	v_lshlrev_b64 v[1:2], 2, v[1:2]
	s_addc_u32 s1, s1, s5
	v_mov_b32_e32 v4, s1
	v_add_co_u32_e32 v1, vcc, s0, v1
	v_addc_co_u32_e32 v2, vcc, v4, v2, vcc
	global_load_dword v1, v[1:2], off
	s_waitcnt vmcnt(0)
	v_add_f32_e32 v3, v3, v1
.LBB21_6:
	s_or_b64 exec, exec, s[8:9]
	v_and_b32_e32 v2, 63, v0
	v_cmp_gt_u32_e32 vcc, 64, v0
	v_lshlrev_b32_e32 v1, 2, v2
	s_and_saveexec_b64 s[0:1], vcc
; %bb.7:
	v_mov_b32_e32 v4, 0
	ds_write_b32 v1, v4
; %bb.8:
	s_or_b64 exec, exec, s[0:1]
	v_mbcnt_lo_u32_b32 v4, -1, 0
	v_mbcnt_hi_u32_b32 v5, -1, v4
	v_mov_b32_e32 v4, 0x80
	v_lshl_or_b32 v4, v5, 2, v4
	ds_bpermute_b32 v4, v4, v3
	v_and_b32_e32 v6, 63, v5
	v_cmp_gt_u32_e64 s[0:1], 48, v6
	v_cndmask_b32_e64 v7, 0, 16, s[0:1]
	v_cmp_gt_u32_e64 s[0:1], 56, v6
	s_waitcnt lgkmcnt(0)
	v_add_f32_e32 v3, v3, v4
	v_add_lshl_u32 v4, v7, v5, 2
	ds_bpermute_b32 v4, v4, v3
	v_cndmask_b32_e64 v7, 0, 8, s[0:1]
	v_add_lshl_u32 v7, v7, v5, 2
	v_cmp_gt_u32_e64 s[0:1], 60, v6
	s_waitcnt lgkmcnt(0)
	v_add_f32_e32 v4, v3, v4
	ds_bpermute_b32 v7, v7, v4
	v_cndmask_b32_e64 v3, 0, 4, s[0:1]
	v_add_lshl_u32 v3, v3, v5, 2
	v_cmp_gt_u32_e64 s[0:1], 62, v6
	s_waitcnt lgkmcnt(0)
	s_barrier
	v_add_f32_e32 v7, v4, v7
	ds_bpermute_b32 v8, v3, v7
	v_cndmask_b32_e64 v4, 0, 2, s[0:1]
	v_add_lshl_u32 v4, v4, v5, 2
	v_cmp_ne_u32_e64 s[0:1], 63, v6
	v_addc_co_u32_e64 v5, s[0:1], 0, v5, s[0:1]
	s_waitcnt lgkmcnt(0)
	v_add_f32_e32 v7, v7, v8
	ds_bpermute_b32 v8, v4, v7
	v_lshlrev_b32_e32 v5, 2, v5
	v_cmp_eq_u32_e64 s[0:1], 0, v2
	s_waitcnt lgkmcnt(0)
	v_add_f32_e32 v6, v7, v8
	ds_bpermute_b32 v7, v5, v6
	s_and_saveexec_b64 s[4:5], s[0:1]
	s_cbranch_execz .LBB21_10
; %bb.9:
	s_waitcnt lgkmcnt(0)
	v_add_f32_e32 v2, v6, v7
	v_lshrrev_b32_e32 v6, 4, v0
	v_and_b32_e32 v6, 28, v6
	ds_write_b32 v6, v2
.LBB21_10:
	s_or_b64 exec, exec, s[4:5]
	v_cmp_gt_u32_e64 s[0:1], 8, v0
	v_mov_b32_e32 v2, 0
	s_waitcnt lgkmcnt(0)
	s_barrier
	s_and_saveexec_b64 s[4:5], s[0:1]
	s_cbranch_execnz .LBB21_14
; %bb.11:
	s_or_b64 exec, exec, s[4:5]
	s_and_saveexec_b64 s[0:1], vcc
	s_cbranch_execnz .LBB21_15
.LBB21_12:
	s_or_b64 exec, exec, s[0:1]
	v_cmp_eq_u32_e32 vcc, 0, v0
	s_and_saveexec_b64 s[0:1], vcc
	s_cbranch_execnz .LBB21_16
.LBB21_13:
	s_endpgm
.LBB21_14:
	ds_read_b32 v2, v1
	s_or_b64 exec, exec, s[4:5]
	s_and_saveexec_b64 s[0:1], vcc
	s_cbranch_execz .LBB21_12
.LBB21_15:
	s_waitcnt lgkmcnt(0)
	ds_bpermute_b32 v1, v3, v2
	s_waitcnt lgkmcnt(0)
	v_add_f32_e32 v1, v2, v1
	ds_bpermute_b32 v2, v4, v1
	s_waitcnt lgkmcnt(0)
	v_add_f32_e32 v1, v1, v2
	;; [unrolled: 3-line block ×3, first 2 shown]
	s_or_b64 exec, exec, s[0:1]
	v_cmp_eq_u32_e32 vcc, 0, v0
	s_and_saveexec_b64 s[0:1], vcc
	s_cbranch_execz .LBB21_13
.LBB21_16:
	s_mov_b32 s0, 0xf800000
	s_waitcnt lgkmcnt(0)
	v_mul_f32_e32 v0, 0x4f800000, v2
	v_cmp_gt_f32_e32 vcc, s0, v2
	v_cndmask_b32_e32 v0, v2, v0, vcc
	v_sqrt_f32_e32 v1, v0
	s_lshl_b64 s[4:5], s[6:7], 1
	v_add_u32_e32 v2, -1, v1
	v_fma_f32 v3, -v2, v1, v0
	v_cmp_ge_f32_e64 s[0:1], 0, v3
	v_add_u32_e32 v3, 1, v1
	v_cndmask_b32_e64 v2, v1, v2, s[0:1]
	v_fma_f32 v1, -v3, v1, v0
	v_cmp_lt_f32_e64 s[0:1], 0, v1
	v_cndmask_b32_e64 v1, v2, v3, s[0:1]
	v_mul_f32_e32 v2, 0x37800000, v1
	v_cndmask_b32_e32 v1, v1, v2, vcc
	v_mov_b32_e32 v2, 0x260
	v_cmp_class_f32_e32 vcc, v0, v2
	v_cndmask_b32_e32 v0, v1, v0, vcc
	v_cvt_f16_f32_e32 v0, v0
	s_add_u32 s0, s2, s4
	s_addc_u32 s1, s3, s5
	v_mov_b32_e32 v1, 0
	global_store_short v1, v0, s[0:1]
	s_endpgm
	.section	.rodata,"a",@progbits
	.p2align	6, 0x0
	.amdhsa_kernel _ZL30rocblas_reduction_kernel_part2ILi512ELi4E21rocblas_finalize_nrm2fDF16_EviPT2_PT3_
		.amdhsa_group_segment_fixed_size 256
		.amdhsa_private_segment_fixed_size 0
		.amdhsa_kernarg_size 24
		.amdhsa_user_sgpr_count 6
		.amdhsa_user_sgpr_private_segment_buffer 1
		.amdhsa_user_sgpr_dispatch_ptr 0
		.amdhsa_user_sgpr_queue_ptr 0
		.amdhsa_user_sgpr_kernarg_segment_ptr 1
		.amdhsa_user_sgpr_dispatch_id 0
		.amdhsa_user_sgpr_flat_scratch_init 0
		.amdhsa_user_sgpr_private_segment_size 0
		.amdhsa_uses_dynamic_stack 0
		.amdhsa_system_sgpr_private_segment_wavefront_offset 0
		.amdhsa_system_sgpr_workgroup_id_x 1
		.amdhsa_system_sgpr_workgroup_id_y 0
		.amdhsa_system_sgpr_workgroup_id_z 0
		.amdhsa_system_sgpr_workgroup_info 0
		.amdhsa_system_vgpr_workitem_id 0
		.amdhsa_next_free_vgpr 9
		.amdhsa_next_free_sgpr 14
		.amdhsa_reserve_vcc 1
		.amdhsa_reserve_flat_scratch 0
		.amdhsa_float_round_mode_32 0
		.amdhsa_float_round_mode_16_64 0
		.amdhsa_float_denorm_mode_32 3
		.amdhsa_float_denorm_mode_16_64 3
		.amdhsa_dx10_clamp 1
		.amdhsa_ieee_mode 1
		.amdhsa_fp16_overflow 0
		.amdhsa_exception_fp_ieee_invalid_op 0
		.amdhsa_exception_fp_denorm_src 0
		.amdhsa_exception_fp_ieee_div_zero 0
		.amdhsa_exception_fp_ieee_overflow 0
		.amdhsa_exception_fp_ieee_underflow 0
		.amdhsa_exception_fp_ieee_inexact 0
		.amdhsa_exception_int_div_zero 0
	.end_amdhsa_kernel
	.section	.text._ZL30rocblas_reduction_kernel_part2ILi512ELi4E21rocblas_finalize_nrm2fDF16_EviPT2_PT3_,"axG",@progbits,_ZL30rocblas_reduction_kernel_part2ILi512ELi4E21rocblas_finalize_nrm2fDF16_EviPT2_PT3_,comdat
.Lfunc_end21:
	.size	_ZL30rocblas_reduction_kernel_part2ILi512ELi4E21rocblas_finalize_nrm2fDF16_EviPT2_PT3_, .Lfunc_end21-_ZL30rocblas_reduction_kernel_part2ILi512ELi4E21rocblas_finalize_nrm2fDF16_EviPT2_PT3_
                                        ; -- End function
	.set _ZL30rocblas_reduction_kernel_part2ILi512ELi4E21rocblas_finalize_nrm2fDF16_EviPT2_PT3_.num_vgpr, 9
	.set _ZL30rocblas_reduction_kernel_part2ILi512ELi4E21rocblas_finalize_nrm2fDF16_EviPT2_PT3_.num_agpr, 0
	.set _ZL30rocblas_reduction_kernel_part2ILi512ELi4E21rocblas_finalize_nrm2fDF16_EviPT2_PT3_.numbered_sgpr, 14
	.set _ZL30rocblas_reduction_kernel_part2ILi512ELi4E21rocblas_finalize_nrm2fDF16_EviPT2_PT3_.num_named_barrier, 0
	.set _ZL30rocblas_reduction_kernel_part2ILi512ELi4E21rocblas_finalize_nrm2fDF16_EviPT2_PT3_.private_seg_size, 0
	.set _ZL30rocblas_reduction_kernel_part2ILi512ELi4E21rocblas_finalize_nrm2fDF16_EviPT2_PT3_.uses_vcc, 1
	.set _ZL30rocblas_reduction_kernel_part2ILi512ELi4E21rocblas_finalize_nrm2fDF16_EviPT2_PT3_.uses_flat_scratch, 0
	.set _ZL30rocblas_reduction_kernel_part2ILi512ELi4E21rocblas_finalize_nrm2fDF16_EviPT2_PT3_.has_dyn_sized_stack, 0
	.set _ZL30rocblas_reduction_kernel_part2ILi512ELi4E21rocblas_finalize_nrm2fDF16_EviPT2_PT3_.has_recursion, 0
	.set _ZL30rocblas_reduction_kernel_part2ILi512ELi4E21rocblas_finalize_nrm2fDF16_EviPT2_PT3_.has_indirect_call, 0
	.section	.AMDGPU.csdata,"",@progbits
; Kernel info:
; codeLenInByte = 888
; TotalNumSgprs: 18
; NumVgprs: 9
; ScratchSize: 0
; MemoryBound: 0
; FloatMode: 240
; IeeeMode: 1
; LDSByteSize: 256 bytes/workgroup (compile time only)
; SGPRBlocks: 2
; VGPRBlocks: 2
; NumSGPRsForWavesPerEU: 18
; NumVGPRsForWavesPerEU: 9
; Occupancy: 10
; WaveLimiterHint : 0
; COMPUTE_PGM_RSRC2:SCRATCH_EN: 0
; COMPUTE_PGM_RSRC2:USER_SGPR: 6
; COMPUTE_PGM_RSRC2:TRAP_HANDLER: 0
; COMPUTE_PGM_RSRC2:TGID_X_EN: 1
; COMPUTE_PGM_RSRC2:TGID_Y_EN: 0
; COMPUTE_PGM_RSRC2:TGID_Z_EN: 0
; COMPUTE_PGM_RSRC2:TIDIG_COMP_CNT: 0
	.section	.text._ZL30rocblas_reduction_kernel_part1IiLi512ELi4E18rocblas_fetch_nrm2IfEPKPKDF16_fEviiT3_lT_liPT4_,"axG",@progbits,_ZL30rocblas_reduction_kernel_part1IiLi512ELi4E18rocblas_fetch_nrm2IfEPKPKDF16_fEviiT3_lT_liPT4_,comdat
	.globl	_ZL30rocblas_reduction_kernel_part1IiLi512ELi4E18rocblas_fetch_nrm2IfEPKPKDF16_fEviiT3_lT_liPT4_ ; -- Begin function _ZL30rocblas_reduction_kernel_part1IiLi512ELi4E18rocblas_fetch_nrm2IfEPKPKDF16_fEviiT3_lT_liPT4_
	.p2align	8
	.type	_ZL30rocblas_reduction_kernel_part1IiLi512ELi4E18rocblas_fetch_nrm2IfEPKPKDF16_fEviiT3_lT_liPT4_,@function
_ZL30rocblas_reduction_kernel_part1IiLi512ELi4E18rocblas_fetch_nrm2IfEPKPKDF16_fEviiT3_lT_liPT4_: ; @_ZL30rocblas_reduction_kernel_part1IiLi512ELi4E18rocblas_fetch_nrm2IfEPKPKDF16_fEviiT3_lT_liPT4_
; %bb.0:
	s_load_dwordx2 s[8:9], s[4:5], 0x0
	v_lshl_or_b32 v1, s6, 9, v0
	v_mov_b32_e32 v2, 0
	s_mov_b32 s2, s7
	s_waitcnt lgkmcnt(0)
	s_ashr_i32 s13, s8, 31
	s_mov_b32 s12, s8
	v_cmp_gt_i64_e32 vcc, s[12:13], v[1:2]
	s_and_saveexec_b64 s[10:11], vcc
	s_cbranch_execz .LBB22_4
; %bb.1:
	s_load_dword s8, s[4:5], 0x18
	s_load_dwordx4 s[16:19], s[4:5], 0x8
	s_mov_b32 s3, 0
	s_lshl_b64 s[0:1], s[2:3], 3
	s_load_dword s7, s[4:5], 0x38
	s_waitcnt lgkmcnt(0)
	v_mad_u64_u32 v[5:6], s[14:15], s8, v1, 0
	s_ashr_i32 s20, s8, 31
	s_add_u32 s0, s16, s0
	s_addc_u32 s1, s17, s1
	v_mov_b32_e32 v2, v6
	s_load_dwordx2 s[0:1], s[0:1], 0x0
	v_mad_u64_u32 v[2:3], s[14:15], s20, v1, v[2:3]
	s_lshl_b32 s7, s7, 9
	s_ashr_i32 s21, s7, 31
	v_mov_b32_e32 v6, v2
	s_lshl_b64 s[14:15], s[18:19], 1
	v_mov_b32_e32 v4, s21
	v_add_co_u32_e32 v3, vcc, s7, v1
	v_lshlrev_b64 v[1:2], 1, v[5:6]
	s_waitcnt lgkmcnt(0)
	s_add_u32 s0, s0, s14
	v_addc_co_u32_e32 v4, vcc, 0, v4, vcc
	s_addc_u32 s1, s1, s15
	v_mov_b32_e32 v6, s1
	v_add_co_u32_e32 v5, vcc, s0, v1
	s_mul_hi_i32 s1, s8, s7
	s_mul_i32 s0, s8, s7
	s_lshl_b64 s[14:15], s[0:1], 1
	v_addc_co_u32_e32 v6, vcc, v6, v2, vcc
	v_mov_b32_e32 v2, 0
	s_mov_b64 s[16:17], 0
	v_mov_b32_e32 v1, s21
	v_mov_b32_e32 v7, s15
.LBB22_2:                               ; =>This Inner Loop Header: Depth=1
	flat_load_ushort v8, v[5:6]
	v_cmp_le_i64_e32 vcc, s[12:13], v[3:4]
	v_add_co_u32_e64 v3, s[0:1], s7, v3
	v_addc_co_u32_e64 v4, s[0:1], v4, v1, s[0:1]
	s_add_i32 s8, s3, 1
	v_add_co_u32_e64 v5, s[0:1], s14, v5
	v_addc_co_u32_e64 v6, s[0:1], v6, v7, s[0:1]
	s_cmp_gt_u32 s3, 2
	s_cselect_b64 s[0:1], -1, 0
	s_or_b64 s[0:1], s[0:1], vcc
	s_and_b64 s[0:1], exec, s[0:1]
	s_mov_b32 s3, s8
	s_or_b64 s[16:17], s[0:1], s[16:17]
	s_waitcnt vmcnt(0) lgkmcnt(0)
	v_mul_f16_e32 v8, v8, v8
	v_cvt_f32_f16_e32 v8, v8
	v_add_f32_e32 v2, v2, v8
	s_andn2_b64 exec, exec, s[16:17]
	s_cbranch_execnz .LBB22_2
; %bb.3:
	s_or_b64 exec, exec, s[16:17]
.LBB22_4:
	s_or_b64 exec, exec, s[10:11]
	v_and_b32_e32 v3, 63, v0
	v_cmp_gt_u32_e32 vcc, 64, v0
	v_lshlrev_b32_e32 v1, 2, v3
	s_and_saveexec_b64 s[0:1], vcc
; %bb.5:
	v_mov_b32_e32 v4, 0
	ds_write_b32 v1, v4
; %bb.6:
	s_or_b64 exec, exec, s[0:1]
	v_mbcnt_lo_u32_b32 v4, -1, 0
	v_mbcnt_hi_u32_b32 v5, -1, v4
	v_mov_b32_e32 v4, 0x80
	v_lshl_or_b32 v4, v5, 2, v4
	ds_bpermute_b32 v4, v4, v2
	v_and_b32_e32 v6, 63, v5
	v_cmp_gt_u32_e64 s[0:1], 48, v6
	v_cndmask_b32_e64 v7, 0, 16, s[0:1]
	v_cmp_gt_u32_e64 s[0:1], 56, v6
	s_waitcnt lgkmcnt(0)
	v_add_f32_e32 v2, v2, v4
	v_add_lshl_u32 v4, v7, v5, 2
	ds_bpermute_b32 v4, v4, v2
	v_cndmask_b32_e64 v7, 0, 8, s[0:1]
	v_add_lshl_u32 v7, v7, v5, 2
	v_cmp_gt_u32_e64 s[0:1], 60, v6
	s_waitcnt lgkmcnt(0)
	v_add_f32_e32 v4, v2, v4
	ds_bpermute_b32 v7, v7, v4
	v_cndmask_b32_e64 v2, 0, 4, s[0:1]
	v_add_lshl_u32 v2, v2, v5, 2
	v_cmp_gt_u32_e64 s[0:1], 62, v6
	s_waitcnt lgkmcnt(0)
	s_barrier
	v_add_f32_e32 v7, v4, v7
	ds_bpermute_b32 v8, v2, v7
	v_cndmask_b32_e64 v4, 0, 2, s[0:1]
	v_add_lshl_u32 v4, v4, v5, 2
	v_cmp_ne_u32_e64 s[0:1], 63, v6
	v_addc_co_u32_e64 v5, s[0:1], 0, v5, s[0:1]
	s_waitcnt lgkmcnt(0)
	v_add_f32_e32 v7, v7, v8
	ds_bpermute_b32 v8, v4, v7
	v_lshlrev_b32_e32 v5, 2, v5
	v_cmp_eq_u32_e64 s[0:1], 0, v3
	s_waitcnt lgkmcnt(0)
	v_add_f32_e32 v6, v7, v8
	ds_bpermute_b32 v7, v5, v6
	s_and_saveexec_b64 s[10:11], s[0:1]
	s_cbranch_execz .LBB22_8
; %bb.7:
	s_waitcnt lgkmcnt(0)
	v_add_f32_e32 v3, v6, v7
	v_lshrrev_b32_e32 v6, 4, v0
	v_and_b32_e32 v6, 28, v6
	ds_write_b32 v6, v3
.LBB22_8:
	s_or_b64 exec, exec, s[10:11]
	v_cmp_gt_u32_e64 s[0:1], 8, v0
	v_mov_b32_e32 v3, 0
	s_waitcnt lgkmcnt(0)
	s_barrier
	s_and_saveexec_b64 s[10:11], s[0:1]
; %bb.9:
	ds_read_b32 v3, v1
; %bb.10:
	s_or_b64 exec, exec, s[10:11]
	s_and_saveexec_b64 s[0:1], vcc
	s_cbranch_execz .LBB22_12
; %bb.11:
	s_waitcnt lgkmcnt(0)
	ds_bpermute_b32 v1, v2, v3
	s_waitcnt lgkmcnt(0)
	v_add_f32_e32 v1, v3, v1
	ds_bpermute_b32 v2, v4, v1
	s_waitcnt lgkmcnt(0)
	v_add_f32_e32 v1, v1, v2
	;; [unrolled: 3-line block ×3, first 2 shown]
.LBB22_12:
	s_or_b64 exec, exec, s[0:1]
	s_mov_b32 s1, 0
	v_cmp_eq_u32_e32 vcc, 0, v0
	s_and_saveexec_b64 s[10:11], vcc
	s_cbranch_execz .LBB22_14
; %bb.13:
	s_load_dwordx2 s[4:5], s[4:5], 0x30
	s_mul_i32 s0, s9, s2
	s_add_i32 s0, s0, s6
	s_lshl_b64 s[0:1], s[0:1], 2
	v_mov_b32_e32 v0, 0
	s_waitcnt lgkmcnt(0)
	s_add_u32 s0, s4, s0
	s_addc_u32 s1, s5, s1
	global_store_dword v0, v3, s[0:1]
.LBB22_14:
	s_endpgm
	.section	.rodata,"a",@progbits
	.p2align	6, 0x0
	.amdhsa_kernel _ZL30rocblas_reduction_kernel_part1IiLi512ELi4E18rocblas_fetch_nrm2IfEPKPKDF16_fEviiT3_lT_liPT4_
		.amdhsa_group_segment_fixed_size 256
		.amdhsa_private_segment_fixed_size 0
		.amdhsa_kernarg_size 312
		.amdhsa_user_sgpr_count 6
		.amdhsa_user_sgpr_private_segment_buffer 1
		.amdhsa_user_sgpr_dispatch_ptr 0
		.amdhsa_user_sgpr_queue_ptr 0
		.amdhsa_user_sgpr_kernarg_segment_ptr 1
		.amdhsa_user_sgpr_dispatch_id 0
		.amdhsa_user_sgpr_flat_scratch_init 0
		.amdhsa_user_sgpr_private_segment_size 0
		.amdhsa_uses_dynamic_stack 0
		.amdhsa_system_sgpr_private_segment_wavefront_offset 0
		.amdhsa_system_sgpr_workgroup_id_x 1
		.amdhsa_system_sgpr_workgroup_id_y 0
		.amdhsa_system_sgpr_workgroup_id_z 1
		.amdhsa_system_sgpr_workgroup_info 0
		.amdhsa_system_vgpr_workitem_id 0
		.amdhsa_next_free_vgpr 9
		.amdhsa_next_free_sgpr 22
		.amdhsa_reserve_vcc 1
		.amdhsa_reserve_flat_scratch 0
		.amdhsa_float_round_mode_32 0
		.amdhsa_float_round_mode_16_64 0
		.amdhsa_float_denorm_mode_32 3
		.amdhsa_float_denorm_mode_16_64 3
		.amdhsa_dx10_clamp 1
		.amdhsa_ieee_mode 1
		.amdhsa_fp16_overflow 0
		.amdhsa_exception_fp_ieee_invalid_op 0
		.amdhsa_exception_fp_denorm_src 0
		.amdhsa_exception_fp_ieee_div_zero 0
		.amdhsa_exception_fp_ieee_overflow 0
		.amdhsa_exception_fp_ieee_underflow 0
		.amdhsa_exception_fp_ieee_inexact 0
		.amdhsa_exception_int_div_zero 0
	.end_amdhsa_kernel
	.section	.text._ZL30rocblas_reduction_kernel_part1IiLi512ELi4E18rocblas_fetch_nrm2IfEPKPKDF16_fEviiT3_lT_liPT4_,"axG",@progbits,_ZL30rocblas_reduction_kernel_part1IiLi512ELi4E18rocblas_fetch_nrm2IfEPKPKDF16_fEviiT3_lT_liPT4_,comdat
.Lfunc_end22:
	.size	_ZL30rocblas_reduction_kernel_part1IiLi512ELi4E18rocblas_fetch_nrm2IfEPKPKDF16_fEviiT3_lT_liPT4_, .Lfunc_end22-_ZL30rocblas_reduction_kernel_part1IiLi512ELi4E18rocblas_fetch_nrm2IfEPKPKDF16_fEviiT3_lT_liPT4_
                                        ; -- End function
	.set _ZL30rocblas_reduction_kernel_part1IiLi512ELi4E18rocblas_fetch_nrm2IfEPKPKDF16_fEviiT3_lT_liPT4_.num_vgpr, 9
	.set _ZL30rocblas_reduction_kernel_part1IiLi512ELi4E18rocblas_fetch_nrm2IfEPKPKDF16_fEviiT3_lT_liPT4_.num_agpr, 0
	.set _ZL30rocblas_reduction_kernel_part1IiLi512ELi4E18rocblas_fetch_nrm2IfEPKPKDF16_fEviiT3_lT_liPT4_.numbered_sgpr, 22
	.set _ZL30rocblas_reduction_kernel_part1IiLi512ELi4E18rocblas_fetch_nrm2IfEPKPKDF16_fEviiT3_lT_liPT4_.num_named_barrier, 0
	.set _ZL30rocblas_reduction_kernel_part1IiLi512ELi4E18rocblas_fetch_nrm2IfEPKPKDF16_fEviiT3_lT_liPT4_.private_seg_size, 0
	.set _ZL30rocblas_reduction_kernel_part1IiLi512ELi4E18rocblas_fetch_nrm2IfEPKPKDF16_fEviiT3_lT_liPT4_.uses_vcc, 1
	.set _ZL30rocblas_reduction_kernel_part1IiLi512ELi4E18rocblas_fetch_nrm2IfEPKPKDF16_fEviiT3_lT_liPT4_.uses_flat_scratch, 0
	.set _ZL30rocblas_reduction_kernel_part1IiLi512ELi4E18rocblas_fetch_nrm2IfEPKPKDF16_fEviiT3_lT_liPT4_.has_dyn_sized_stack, 0
	.set _ZL30rocblas_reduction_kernel_part1IiLi512ELi4E18rocblas_fetch_nrm2IfEPKPKDF16_fEviiT3_lT_liPT4_.has_recursion, 0
	.set _ZL30rocblas_reduction_kernel_part1IiLi512ELi4E18rocblas_fetch_nrm2IfEPKPKDF16_fEviiT3_lT_liPT4_.has_indirect_call, 0
	.section	.AMDGPU.csdata,"",@progbits
; Kernel info:
; codeLenInByte = 800
; TotalNumSgprs: 26
; NumVgprs: 9
; ScratchSize: 0
; MemoryBound: 0
; FloatMode: 240
; IeeeMode: 1
; LDSByteSize: 256 bytes/workgroup (compile time only)
; SGPRBlocks: 3
; VGPRBlocks: 2
; NumSGPRsForWavesPerEU: 26
; NumVGPRsForWavesPerEU: 9
; Occupancy: 10
; WaveLimiterHint : 0
; COMPUTE_PGM_RSRC2:SCRATCH_EN: 0
; COMPUTE_PGM_RSRC2:USER_SGPR: 6
; COMPUTE_PGM_RSRC2:TRAP_HANDLER: 0
; COMPUTE_PGM_RSRC2:TGID_X_EN: 1
; COMPUTE_PGM_RSRC2:TGID_Y_EN: 0
; COMPUTE_PGM_RSRC2:TGID_Z_EN: 1
; COMPUTE_PGM_RSRC2:TIDIG_COMP_CNT: 0
	.section	.text._ZL30rocblas_reduction_kernel_part1IiLi512ELi4E18rocblas_fetch_nrm2IfEPK16rocblas_bfloat16fEviiT3_lT_liPT4_,"axG",@progbits,_ZL30rocblas_reduction_kernel_part1IiLi512ELi4E18rocblas_fetch_nrm2IfEPK16rocblas_bfloat16fEviiT3_lT_liPT4_,comdat
	.globl	_ZL30rocblas_reduction_kernel_part1IiLi512ELi4E18rocblas_fetch_nrm2IfEPK16rocblas_bfloat16fEviiT3_lT_liPT4_ ; -- Begin function _ZL30rocblas_reduction_kernel_part1IiLi512ELi4E18rocblas_fetch_nrm2IfEPK16rocblas_bfloat16fEviiT3_lT_liPT4_
	.p2align	8
	.type	_ZL30rocblas_reduction_kernel_part1IiLi512ELi4E18rocblas_fetch_nrm2IfEPK16rocblas_bfloat16fEviiT3_lT_liPT4_,@function
_ZL30rocblas_reduction_kernel_part1IiLi512ELi4E18rocblas_fetch_nrm2IfEPK16rocblas_bfloat16fEviiT3_lT_liPT4_: ; @_ZL30rocblas_reduction_kernel_part1IiLi512ELi4E18rocblas_fetch_nrm2IfEPK16rocblas_bfloat16fEviiT3_lT_liPT4_
; %bb.0:
	s_load_dwordx2 s[2:3], s[4:5], 0x0
	v_lshl_or_b32 v1, s6, 9, v0
	v_mov_b32_e32 v2, 0
	s_mov_b32 s17, 0
	s_waitcnt lgkmcnt(0)
	s_ashr_i32 s1, s2, 31
	s_mov_b32 s0, s2
	v_cmp_gt_i64_e32 vcc, s[0:1], v[1:2]
	s_and_saveexec_b64 s[8:9], vcc
	s_cbranch_execz .LBB23_8
; %bb.1:
	s_load_dword s20, s[4:5], 0x18
	s_load_dword s2, s[4:5], 0x38
	s_load_dwordx4 s[12:15], s[4:5], 0x8
	s_load_dwordx2 s[10:11], s[4:5], 0x20
	s_waitcnt lgkmcnt(0)
	v_mad_u64_u32 v[5:6], s[18:19], s20, v1, 0
	s_lshl_b32 s2, s2, 9
	s_ashr_i32 s16, s2, 31
	v_mov_b32_e32 v2, s16
	v_add_co_u32_e32 v3, vcc, s2, v1
	s_ashr_i32 s21, s20, 31
	v_addc_co_u32_e32 v4, vcc, 0, v2, vcc
	v_mov_b32_e32 v2, v6
	s_mul_i32 s11, s11, s7
	s_mul_hi_u32 s22, s10, s7
	v_mad_u64_u32 v[1:2], s[18:19], s21, v1, v[2:3]
	s_add_i32 s11, s22, s11
	s_mul_i32 s10, s10, s7
	s_lshl_b64 s[10:11], s[10:11], 1
	s_lshl_b64 s[14:15], s[14:15], 1
	s_add_u32 s12, s12, s14
	v_mov_b32_e32 v6, v1
	s_addc_u32 s13, s13, s15
	v_lshlrev_b64 v[1:2], 1, v[5:6]
	s_add_u32 s10, s12, s10
	s_addc_u32 s11, s13, s11
	v_mov_b32_e32 v6, s11
	v_add_co_u32_e32 v5, vcc, s10, v1
	s_mul_hi_i32 s11, s20, s2
	s_mul_i32 s10, s20, s2
	v_addc_co_u32_e32 v6, vcc, v6, v2, vcc
	s_lshl_b64 s[10:11], s[10:11], 1
	v_mov_b32_e32 v1, 0
	s_mov_b64 s[12:13], 0
	s_mov_b32 s18, 0x7f800000
	s_movk_i32 s19, 0x7fff
	v_mov_b32_e32 v2, 0
	s_branch .LBB23_3
.LBB23_2:                               ;   in Loop: Header=BB23_3 Depth=1
	s_or_b64 exec, exec, s[14:15]
	s_add_i32 s20, s17, 1
	s_cmp_gt_u32 s17, 2
	v_cmp_le_i64_e32 vcc, s[0:1], v[3:4]
	v_and_b32_e32 v7, 0xffff0000, v8
	s_cselect_b64 s[14:15], -1, 0
	v_add_f32_e32 v2, v2, v7
	s_or_b64 s[14:15], s[14:15], vcc
	v_mov_b32_e32 v7, s16
	v_add_co_u32_e32 v3, vcc, s2, v3
	v_addc_co_u32_e32 v4, vcc, v4, v7, vcc
	v_mov_b32_e32 v7, s11
	v_add_co_u32_e32 v5, vcc, s10, v5
	s_and_b64 s[14:15], exec, s[14:15]
	v_addc_co_u32_e32 v6, vcc, v6, v7, vcc
	s_or_b64 s[12:13], s[14:15], s[12:13]
	s_mov_b32 s17, s20
	s_andn2_b64 exec, exec, s[12:13]
	s_cbranch_execz .LBB23_7
.LBB23_3:                               ; =>This Inner Loop Header: Depth=1
	global_load_ushort v7, v[5:6], off
	s_waitcnt vmcnt(0)
	v_lshlrev_b32_e32 v7, 16, v7
	v_mul_f32_e32 v7, v7, v7
	v_and_b32_e32 v8, 0x7f800000, v7
	v_cmp_ne_u32_e32 vcc, s18, v8
                                        ; implicit-def: $vgpr8
	s_and_saveexec_b64 s[14:15], vcc
	s_xor_b64 s[14:15], exec, s[14:15]
; %bb.4:                                ;   in Loop: Header=BB23_3 Depth=1
	v_bfe_u32 v8, v7, 16, 1
	v_add3_u32 v8, v7, v8, s19
                                        ; implicit-def: $vgpr7
; %bb.5:                                ;   in Loop: Header=BB23_3 Depth=1
	s_andn2_saveexec_b64 s[14:15], s[14:15]
	s_cbranch_execz .LBB23_2
; %bb.6:                                ;   in Loop: Header=BB23_3 Depth=1
	v_or_b32_e32 v8, 0x10000, v7
	v_cmp_eq_u32_sdwa vcc, v7, v1 src0_sel:WORD_0 src1_sel:DWORD
	v_cndmask_b32_e32 v8, v8, v7, vcc
	s_branch .LBB23_2
.LBB23_7:
	s_or_b64 exec, exec, s[12:13]
.LBB23_8:
	s_or_b64 exec, exec, s[8:9]
	v_and_b32_e32 v3, 63, v0
	v_cmp_gt_u32_e32 vcc, 64, v0
	v_lshlrev_b32_e32 v1, 2, v3
	s_and_saveexec_b64 s[0:1], vcc
; %bb.9:
	v_mov_b32_e32 v4, 0
	ds_write_b32 v1, v4
; %bb.10:
	s_or_b64 exec, exec, s[0:1]
	v_mbcnt_lo_u32_b32 v4, -1, 0
	v_mbcnt_hi_u32_b32 v5, -1, v4
	v_mov_b32_e32 v4, 0x80
	v_lshl_or_b32 v4, v5, 2, v4
	ds_bpermute_b32 v4, v4, v2
	v_and_b32_e32 v6, 63, v5
	v_cmp_gt_u32_e64 s[0:1], 48, v6
	v_cndmask_b32_e64 v7, 0, 16, s[0:1]
	v_cmp_gt_u32_e64 s[0:1], 56, v6
	s_waitcnt lgkmcnt(0)
	v_add_f32_e32 v2, v2, v4
	v_add_lshl_u32 v4, v7, v5, 2
	ds_bpermute_b32 v4, v4, v2
	v_cndmask_b32_e64 v7, 0, 8, s[0:1]
	v_add_lshl_u32 v7, v7, v5, 2
	v_cmp_gt_u32_e64 s[0:1], 60, v6
	s_waitcnt lgkmcnt(0)
	v_add_f32_e32 v4, v2, v4
	ds_bpermute_b32 v7, v7, v4
	v_cndmask_b32_e64 v2, 0, 4, s[0:1]
	v_add_lshl_u32 v2, v2, v5, 2
	v_cmp_gt_u32_e64 s[0:1], 62, v6
	s_waitcnt lgkmcnt(0)
	s_barrier
	v_add_f32_e32 v7, v4, v7
	ds_bpermute_b32 v8, v2, v7
	v_cndmask_b32_e64 v4, 0, 2, s[0:1]
	v_add_lshl_u32 v4, v4, v5, 2
	v_cmp_ne_u32_e64 s[0:1], 63, v6
	v_addc_co_u32_e64 v5, s[0:1], 0, v5, s[0:1]
	s_waitcnt lgkmcnt(0)
	v_add_f32_e32 v7, v7, v8
	ds_bpermute_b32 v8, v4, v7
	v_lshlrev_b32_e32 v5, 2, v5
	v_cmp_eq_u32_e64 s[0:1], 0, v3
	s_waitcnt lgkmcnt(0)
	v_add_f32_e32 v6, v7, v8
	ds_bpermute_b32 v7, v5, v6
	s_and_saveexec_b64 s[8:9], s[0:1]
	s_cbranch_execz .LBB23_12
; %bb.11:
	s_waitcnt lgkmcnt(0)
	v_add_f32_e32 v3, v6, v7
	v_lshrrev_b32_e32 v6, 4, v0
	v_and_b32_e32 v6, 28, v6
	ds_write_b32 v6, v3
.LBB23_12:
	s_or_b64 exec, exec, s[8:9]
	v_cmp_gt_u32_e64 s[0:1], 8, v0
	v_mov_b32_e32 v3, 0
	s_waitcnt lgkmcnt(0)
	s_barrier
	s_and_saveexec_b64 s[8:9], s[0:1]
; %bb.13:
	ds_read_b32 v3, v1
; %bb.14:
	s_or_b64 exec, exec, s[8:9]
	s_and_saveexec_b64 s[0:1], vcc
	s_cbranch_execz .LBB23_16
; %bb.15:
	s_waitcnt lgkmcnt(0)
	ds_bpermute_b32 v1, v2, v3
	s_waitcnt lgkmcnt(0)
	v_add_f32_e32 v1, v3, v1
	ds_bpermute_b32 v2, v4, v1
	s_waitcnt lgkmcnt(0)
	v_add_f32_e32 v1, v1, v2
	;; [unrolled: 3-line block ×3, first 2 shown]
.LBB23_16:
	s_or_b64 exec, exec, s[0:1]
	s_mov_b32 s1, 0
	v_cmp_eq_u32_e32 vcc, 0, v0
	s_and_saveexec_b64 s[8:9], vcc
	s_cbranch_execz .LBB23_18
; %bb.17:
	s_load_dwordx2 s[4:5], s[4:5], 0x30
	s_mul_i32 s0, s3, s7
	s_add_i32 s0, s0, s6
	s_lshl_b64 s[0:1], s[0:1], 2
	v_mov_b32_e32 v0, 0
	s_waitcnt lgkmcnt(0)
	s_add_u32 s0, s4, s0
	s_addc_u32 s1, s5, s1
	global_store_dword v0, v3, s[0:1]
.LBB23_18:
	s_endpgm
	.section	.rodata,"a",@progbits
	.p2align	6, 0x0
	.amdhsa_kernel _ZL30rocblas_reduction_kernel_part1IiLi512ELi4E18rocblas_fetch_nrm2IfEPK16rocblas_bfloat16fEviiT3_lT_liPT4_
		.amdhsa_group_segment_fixed_size 256
		.amdhsa_private_segment_fixed_size 0
		.amdhsa_kernarg_size 312
		.amdhsa_user_sgpr_count 6
		.amdhsa_user_sgpr_private_segment_buffer 1
		.amdhsa_user_sgpr_dispatch_ptr 0
		.amdhsa_user_sgpr_queue_ptr 0
		.amdhsa_user_sgpr_kernarg_segment_ptr 1
		.amdhsa_user_sgpr_dispatch_id 0
		.amdhsa_user_sgpr_flat_scratch_init 0
		.amdhsa_user_sgpr_private_segment_size 0
		.amdhsa_uses_dynamic_stack 0
		.amdhsa_system_sgpr_private_segment_wavefront_offset 0
		.amdhsa_system_sgpr_workgroup_id_x 1
		.amdhsa_system_sgpr_workgroup_id_y 0
		.amdhsa_system_sgpr_workgroup_id_z 1
		.amdhsa_system_sgpr_workgroup_info 0
		.amdhsa_system_vgpr_workitem_id 0
		.amdhsa_next_free_vgpr 9
		.amdhsa_next_free_sgpr 23
		.amdhsa_reserve_vcc 1
		.amdhsa_reserve_flat_scratch 0
		.amdhsa_float_round_mode_32 0
		.amdhsa_float_round_mode_16_64 0
		.amdhsa_float_denorm_mode_32 3
		.amdhsa_float_denorm_mode_16_64 3
		.amdhsa_dx10_clamp 1
		.amdhsa_ieee_mode 1
		.amdhsa_fp16_overflow 0
		.amdhsa_exception_fp_ieee_invalid_op 0
		.amdhsa_exception_fp_denorm_src 0
		.amdhsa_exception_fp_ieee_div_zero 0
		.amdhsa_exception_fp_ieee_overflow 0
		.amdhsa_exception_fp_ieee_underflow 0
		.amdhsa_exception_fp_ieee_inexact 0
		.amdhsa_exception_int_div_zero 0
	.end_amdhsa_kernel
	.section	.text._ZL30rocblas_reduction_kernel_part1IiLi512ELi4E18rocblas_fetch_nrm2IfEPK16rocblas_bfloat16fEviiT3_lT_liPT4_,"axG",@progbits,_ZL30rocblas_reduction_kernel_part1IiLi512ELi4E18rocblas_fetch_nrm2IfEPK16rocblas_bfloat16fEviiT3_lT_liPT4_,comdat
.Lfunc_end23:
	.size	_ZL30rocblas_reduction_kernel_part1IiLi512ELi4E18rocblas_fetch_nrm2IfEPK16rocblas_bfloat16fEviiT3_lT_liPT4_, .Lfunc_end23-_ZL30rocblas_reduction_kernel_part1IiLi512ELi4E18rocblas_fetch_nrm2IfEPK16rocblas_bfloat16fEviiT3_lT_liPT4_
                                        ; -- End function
	.set _ZL30rocblas_reduction_kernel_part1IiLi512ELi4E18rocblas_fetch_nrm2IfEPK16rocblas_bfloat16fEviiT3_lT_liPT4_.num_vgpr, 9
	.set _ZL30rocblas_reduction_kernel_part1IiLi512ELi4E18rocblas_fetch_nrm2IfEPK16rocblas_bfloat16fEviiT3_lT_liPT4_.num_agpr, 0
	.set _ZL30rocblas_reduction_kernel_part1IiLi512ELi4E18rocblas_fetch_nrm2IfEPK16rocblas_bfloat16fEviiT3_lT_liPT4_.numbered_sgpr, 23
	.set _ZL30rocblas_reduction_kernel_part1IiLi512ELi4E18rocblas_fetch_nrm2IfEPK16rocblas_bfloat16fEviiT3_lT_liPT4_.num_named_barrier, 0
	.set _ZL30rocblas_reduction_kernel_part1IiLi512ELi4E18rocblas_fetch_nrm2IfEPK16rocblas_bfloat16fEviiT3_lT_liPT4_.private_seg_size, 0
	.set _ZL30rocblas_reduction_kernel_part1IiLi512ELi4E18rocblas_fetch_nrm2IfEPK16rocblas_bfloat16fEviiT3_lT_liPT4_.uses_vcc, 1
	.set _ZL30rocblas_reduction_kernel_part1IiLi512ELi4E18rocblas_fetch_nrm2IfEPK16rocblas_bfloat16fEviiT3_lT_liPT4_.uses_flat_scratch, 0
	.set _ZL30rocblas_reduction_kernel_part1IiLi512ELi4E18rocblas_fetch_nrm2IfEPK16rocblas_bfloat16fEviiT3_lT_liPT4_.has_dyn_sized_stack, 0
	.set _ZL30rocblas_reduction_kernel_part1IiLi512ELi4E18rocblas_fetch_nrm2IfEPK16rocblas_bfloat16fEviiT3_lT_liPT4_.has_recursion, 0
	.set _ZL30rocblas_reduction_kernel_part1IiLi512ELi4E18rocblas_fetch_nrm2IfEPK16rocblas_bfloat16fEviiT3_lT_liPT4_.has_indirect_call, 0
	.section	.AMDGPU.csdata,"",@progbits
; Kernel info:
; codeLenInByte = 892
; TotalNumSgprs: 27
; NumVgprs: 9
; ScratchSize: 0
; MemoryBound: 0
; FloatMode: 240
; IeeeMode: 1
; LDSByteSize: 256 bytes/workgroup (compile time only)
; SGPRBlocks: 3
; VGPRBlocks: 2
; NumSGPRsForWavesPerEU: 27
; NumVGPRsForWavesPerEU: 9
; Occupancy: 10
; WaveLimiterHint : 0
; COMPUTE_PGM_RSRC2:SCRATCH_EN: 0
; COMPUTE_PGM_RSRC2:USER_SGPR: 6
; COMPUTE_PGM_RSRC2:TRAP_HANDLER: 0
; COMPUTE_PGM_RSRC2:TGID_X_EN: 1
; COMPUTE_PGM_RSRC2:TGID_Y_EN: 0
; COMPUTE_PGM_RSRC2:TGID_Z_EN: 1
; COMPUTE_PGM_RSRC2:TIDIG_COMP_CNT: 0
	.section	.text._ZL30rocblas_reduction_kernel_part2ILi512ELi4E21rocblas_finalize_nrm2f16rocblas_bfloat16EviPT2_PT3_,"axG",@progbits,_ZL30rocblas_reduction_kernel_part2ILi512ELi4E21rocblas_finalize_nrm2f16rocblas_bfloat16EviPT2_PT3_,comdat
	.globl	_ZL30rocblas_reduction_kernel_part2ILi512ELi4E21rocblas_finalize_nrm2f16rocblas_bfloat16EviPT2_PT3_ ; -- Begin function _ZL30rocblas_reduction_kernel_part2ILi512ELi4E21rocblas_finalize_nrm2f16rocblas_bfloat16EviPT2_PT3_
	.p2align	8
	.type	_ZL30rocblas_reduction_kernel_part2ILi512ELi4E21rocblas_finalize_nrm2f16rocblas_bfloat16EviPT2_PT3_,@function
_ZL30rocblas_reduction_kernel_part2ILi512ELi4E21rocblas_finalize_nrm2f16rocblas_bfloat16EviPT2_PT3_: ; @_ZL30rocblas_reduction_kernel_part2ILi512ELi4E21rocblas_finalize_nrm2f16rocblas_bfloat16EviPT2_PT3_
; %bb.0:
	s_load_dword s12, s[4:5], 0x0
	s_load_dwordx4 s[0:3], s[4:5], 0x8
	v_lshlrev_b32_e32 v4, 2, v0
	s_mov_b32 s7, 0
	v_mov_b32_e32 v3, 0
	s_waitcnt lgkmcnt(0)
	s_ashr_i32 s8, s12, 31
	s_mul_i32 s5, s8, s6
	s_lshr_b32 s8, s8, 30
	s_add_i32 s8, s12, s8
	s_mul_hi_u32 s4, s12, s6
	s_and_b32 s13, s8, -4
	s_add_i32 s5, s4, s5
	s_mul_i32 s4, s12, s6
	v_cmp_gt_i32_e32 vcc, s13, v4
	s_and_saveexec_b64 s[8:9], vcc
	s_cbranch_execz .LBB24_4
; %bb.1:
	s_lshl_b64 s[10:11], s[4:5], 2
	s_add_u32 s10, s0, s10
	v_lshlrev_b32_e32 v1, 4, v0
	s_addc_u32 s11, s1, s11
	v_mov_b32_e32 v2, s11
	v_add_co_u32_e32 v1, vcc, s10, v1
	v_addc_co_u32_e32 v2, vcc, 0, v2, vcc
	v_add_co_u32_e32 v1, vcc, 8, v1
	v_mov_b32_e32 v3, 0
	v_addc_co_u32_e32 v2, vcc, 0, v2, vcc
	s_mov_b64 s[10:11], 0
.LBB24_2:                               ; =>This Inner Loop Header: Depth=1
	global_load_dwordx4 v[5:8], v[1:2], off offset:-8
	v_add_co_u32_e32 v1, vcc, 0x2000, v1
	v_add_u32_e32 v4, 0x800, v4
	v_addc_co_u32_e32 v2, vcc, 0, v2, vcc
	v_cmp_le_i32_e32 vcc, s13, v4
	s_or_b64 s[10:11], vcc, s[10:11]
	s_waitcnt vmcnt(0)
	v_add_f32_e32 v3, v3, v5
	v_add_f32_e32 v3, v3, v6
	;; [unrolled: 1-line block ×4, first 2 shown]
	s_andn2_b64 exec, exec, s[10:11]
	s_cbranch_execnz .LBB24_2
; %bb.3:
	s_or_b64 exec, exec, s[10:11]
.LBB24_4:
	s_or_b64 exec, exec, s[8:9]
	s_sub_i32 s8, s12, s13
	v_cmp_gt_u32_e32 vcc, s8, v0
	s_and_saveexec_b64 s[8:9], vcc
	s_cbranch_execz .LBB24_6
; %bb.5:
	s_lshl_b64 s[4:5], s[4:5], 2
	v_xad_u32 v1, v0, -1, s12
	v_mov_b32_e32 v2, 0
	s_add_u32 s0, s0, s4
	v_lshlrev_b64 v[1:2], 2, v[1:2]
	s_addc_u32 s1, s1, s5
	v_mov_b32_e32 v4, s1
	v_add_co_u32_e32 v1, vcc, s0, v1
	v_addc_co_u32_e32 v2, vcc, v4, v2, vcc
	global_load_dword v1, v[1:2], off
	s_waitcnt vmcnt(0)
	v_add_f32_e32 v3, v3, v1
.LBB24_6:
	s_or_b64 exec, exec, s[8:9]
	v_and_b32_e32 v2, 63, v0
	v_cmp_gt_u32_e32 vcc, 64, v0
	v_lshlrev_b32_e32 v1, 2, v2
	s_and_saveexec_b64 s[0:1], vcc
; %bb.7:
	v_mov_b32_e32 v4, 0
	ds_write_b32 v1, v4
; %bb.8:
	s_or_b64 exec, exec, s[0:1]
	v_mbcnt_lo_u32_b32 v4, -1, 0
	v_mbcnt_hi_u32_b32 v5, -1, v4
	v_mov_b32_e32 v4, 0x80
	v_lshl_or_b32 v4, v5, 2, v4
	ds_bpermute_b32 v4, v4, v3
	v_and_b32_e32 v6, 63, v5
	v_cmp_gt_u32_e64 s[0:1], 48, v6
	v_cndmask_b32_e64 v7, 0, 16, s[0:1]
	v_cmp_gt_u32_e64 s[0:1], 56, v6
	s_waitcnt lgkmcnt(0)
	v_add_f32_e32 v3, v3, v4
	v_add_lshl_u32 v4, v7, v5, 2
	ds_bpermute_b32 v4, v4, v3
	v_cndmask_b32_e64 v7, 0, 8, s[0:1]
	v_add_lshl_u32 v7, v7, v5, 2
	v_cmp_gt_u32_e64 s[0:1], 60, v6
	s_waitcnt lgkmcnt(0)
	v_add_f32_e32 v4, v3, v4
	ds_bpermute_b32 v7, v7, v4
	v_cndmask_b32_e64 v3, 0, 4, s[0:1]
	v_add_lshl_u32 v3, v3, v5, 2
	v_cmp_gt_u32_e64 s[0:1], 62, v6
	s_waitcnt lgkmcnt(0)
	s_barrier
	v_add_f32_e32 v7, v4, v7
	ds_bpermute_b32 v8, v3, v7
	v_cndmask_b32_e64 v4, 0, 2, s[0:1]
	v_add_lshl_u32 v4, v4, v5, 2
	v_cmp_ne_u32_e64 s[0:1], 63, v6
	v_addc_co_u32_e64 v5, s[0:1], 0, v5, s[0:1]
	s_waitcnt lgkmcnt(0)
	v_add_f32_e32 v7, v7, v8
	ds_bpermute_b32 v8, v4, v7
	v_lshlrev_b32_e32 v5, 2, v5
	v_cmp_eq_u32_e64 s[0:1], 0, v2
	s_waitcnt lgkmcnt(0)
	v_add_f32_e32 v6, v7, v8
	ds_bpermute_b32 v7, v5, v6
	s_and_saveexec_b64 s[4:5], s[0:1]
	s_cbranch_execz .LBB24_10
; %bb.9:
	s_waitcnt lgkmcnt(0)
	v_add_f32_e32 v2, v6, v7
	v_lshrrev_b32_e32 v6, 4, v0
	v_and_b32_e32 v6, 28, v6
	ds_write_b32 v6, v2
.LBB24_10:
	s_or_b64 exec, exec, s[4:5]
	v_cmp_gt_u32_e64 s[0:1], 8, v0
	v_mov_b32_e32 v2, 0
	s_waitcnt lgkmcnt(0)
	s_barrier
	s_and_saveexec_b64 s[4:5], s[0:1]
	s_cbranch_execnz .LBB24_14
; %bb.11:
	s_or_b64 exec, exec, s[4:5]
	s_and_saveexec_b64 s[0:1], vcc
	s_cbranch_execnz .LBB24_15
.LBB24_12:
	s_or_b64 exec, exec, s[0:1]
	v_cmp_eq_u32_e32 vcc, 0, v0
	s_and_saveexec_b64 s[0:1], vcc
	s_cbranch_execnz .LBB24_16
.LBB24_13:
	s_endpgm
.LBB24_14:
	ds_read_b32 v2, v1
	s_or_b64 exec, exec, s[4:5]
	s_and_saveexec_b64 s[0:1], vcc
	s_cbranch_execz .LBB24_12
.LBB24_15:
	s_waitcnt lgkmcnt(0)
	ds_bpermute_b32 v1, v3, v2
	s_waitcnt lgkmcnt(0)
	v_add_f32_e32 v1, v2, v1
	ds_bpermute_b32 v2, v4, v1
	s_waitcnt lgkmcnt(0)
	v_add_f32_e32 v1, v1, v2
	;; [unrolled: 3-line block ×3, first 2 shown]
	s_or_b64 exec, exec, s[0:1]
	v_cmp_eq_u32_e32 vcc, 0, v0
	s_and_saveexec_b64 s[0:1], vcc
	s_cbranch_execz .LBB24_13
.LBB24_16:
	s_mov_b32 s0, 0xf800000
	s_waitcnt lgkmcnt(0)
	v_mul_f32_e32 v0, 0x4f800000, v2
	v_cmp_gt_f32_e32 vcc, s0, v2
	v_cndmask_b32_e32 v0, v2, v0, vcc
	v_sqrt_f32_e32 v1, v0
	v_add_u32_e32 v2, -1, v1
	v_fma_f32 v3, -v2, v1, v0
	v_cmp_ge_f32_e64 s[0:1], 0, v3
	v_add_u32_e32 v3, 1, v1
	v_cndmask_b32_e64 v2, v1, v2, s[0:1]
	v_fma_f32 v1, -v3, v1, v0
	v_cmp_lt_f32_e64 s[0:1], 0, v1
	v_cndmask_b32_e64 v1, v2, v3, s[0:1]
	v_mul_f32_e32 v2, 0x37800000, v1
	v_cndmask_b32_e32 v1, v1, v2, vcc
	v_mov_b32_e32 v2, 0x260
	v_cmp_class_f32_e32 vcc, v0, v2
	v_cndmask_b32_e32 v1, v1, v0, vcc
	s_mov_b32 s0, 0x7f800000
	v_and_b32_e32 v0, 0x7f800000, v1
	v_cmp_ne_u32_e32 vcc, s0, v0
                                        ; implicit-def: $vgpr0
	s_and_saveexec_b64 s[0:1], vcc
	s_xor_b64 s[0:1], exec, s[0:1]
; %bb.17:
	v_bfe_u32 v0, v1, 16, 1
	s_movk_i32 s4, 0x7fff
	v_add3_u32 v0, v1, v0, s4
                                        ; implicit-def: $vgpr1
; %bb.18:
	s_andn2_saveexec_b64 s[0:1], s[0:1]
; %bb.19:
	v_mov_b32_e32 v0, 0
	v_or_b32_e32 v2, 0x10000, v1
	v_cmp_eq_u32_sdwa vcc, v1, v0 src0_sel:WORD_0 src1_sel:DWORD
	v_cndmask_b32_e32 v0, v2, v1, vcc
; %bb.20:
	s_or_b64 exec, exec, s[0:1]
	s_lshl_b64 s[0:1], s[6:7], 1
	s_add_u32 s0, s2, s0
	s_addc_u32 s1, s3, s1
	v_mov_b32_e32 v1, 0
	global_store_short_d16_hi v1, v0, s[0:1]
	s_endpgm
	.section	.rodata,"a",@progbits
	.p2align	6, 0x0
	.amdhsa_kernel _ZL30rocblas_reduction_kernel_part2ILi512ELi4E21rocblas_finalize_nrm2f16rocblas_bfloat16EviPT2_PT3_
		.amdhsa_group_segment_fixed_size 256
		.amdhsa_private_segment_fixed_size 0
		.amdhsa_kernarg_size 24
		.amdhsa_user_sgpr_count 6
		.amdhsa_user_sgpr_private_segment_buffer 1
		.amdhsa_user_sgpr_dispatch_ptr 0
		.amdhsa_user_sgpr_queue_ptr 0
		.amdhsa_user_sgpr_kernarg_segment_ptr 1
		.amdhsa_user_sgpr_dispatch_id 0
		.amdhsa_user_sgpr_flat_scratch_init 0
		.amdhsa_user_sgpr_private_segment_size 0
		.amdhsa_uses_dynamic_stack 0
		.amdhsa_system_sgpr_private_segment_wavefront_offset 0
		.amdhsa_system_sgpr_workgroup_id_x 1
		.amdhsa_system_sgpr_workgroup_id_y 0
		.amdhsa_system_sgpr_workgroup_id_z 0
		.amdhsa_system_sgpr_workgroup_info 0
		.amdhsa_system_vgpr_workitem_id 0
		.amdhsa_next_free_vgpr 9
		.amdhsa_next_free_sgpr 14
		.amdhsa_reserve_vcc 1
		.amdhsa_reserve_flat_scratch 0
		.amdhsa_float_round_mode_32 0
		.amdhsa_float_round_mode_16_64 0
		.amdhsa_float_denorm_mode_32 3
		.amdhsa_float_denorm_mode_16_64 3
		.amdhsa_dx10_clamp 1
		.amdhsa_ieee_mode 1
		.amdhsa_fp16_overflow 0
		.amdhsa_exception_fp_ieee_invalid_op 0
		.amdhsa_exception_fp_denorm_src 0
		.amdhsa_exception_fp_ieee_div_zero 0
		.amdhsa_exception_fp_ieee_overflow 0
		.amdhsa_exception_fp_ieee_underflow 0
		.amdhsa_exception_fp_ieee_inexact 0
		.amdhsa_exception_int_div_zero 0
	.end_amdhsa_kernel
	.section	.text._ZL30rocblas_reduction_kernel_part2ILi512ELi4E21rocblas_finalize_nrm2f16rocblas_bfloat16EviPT2_PT3_,"axG",@progbits,_ZL30rocblas_reduction_kernel_part2ILi512ELi4E21rocblas_finalize_nrm2f16rocblas_bfloat16EviPT2_PT3_,comdat
.Lfunc_end24:
	.size	_ZL30rocblas_reduction_kernel_part2ILi512ELi4E21rocblas_finalize_nrm2f16rocblas_bfloat16EviPT2_PT3_, .Lfunc_end24-_ZL30rocblas_reduction_kernel_part2ILi512ELi4E21rocblas_finalize_nrm2f16rocblas_bfloat16EviPT2_PT3_
                                        ; -- End function
	.set _ZL30rocblas_reduction_kernel_part2ILi512ELi4E21rocblas_finalize_nrm2f16rocblas_bfloat16EviPT2_PT3_.num_vgpr, 9
	.set _ZL30rocblas_reduction_kernel_part2ILi512ELi4E21rocblas_finalize_nrm2f16rocblas_bfloat16EviPT2_PT3_.num_agpr, 0
	.set _ZL30rocblas_reduction_kernel_part2ILi512ELi4E21rocblas_finalize_nrm2f16rocblas_bfloat16EviPT2_PT3_.numbered_sgpr, 14
	.set _ZL30rocblas_reduction_kernel_part2ILi512ELi4E21rocblas_finalize_nrm2f16rocblas_bfloat16EviPT2_PT3_.num_named_barrier, 0
	.set _ZL30rocblas_reduction_kernel_part2ILi512ELi4E21rocblas_finalize_nrm2f16rocblas_bfloat16EviPT2_PT3_.private_seg_size, 0
	.set _ZL30rocblas_reduction_kernel_part2ILi512ELi4E21rocblas_finalize_nrm2f16rocblas_bfloat16EviPT2_PT3_.uses_vcc, 1
	.set _ZL30rocblas_reduction_kernel_part2ILi512ELi4E21rocblas_finalize_nrm2f16rocblas_bfloat16EviPT2_PT3_.uses_flat_scratch, 0
	.set _ZL30rocblas_reduction_kernel_part2ILi512ELi4E21rocblas_finalize_nrm2f16rocblas_bfloat16EviPT2_PT3_.has_dyn_sized_stack, 0
	.set _ZL30rocblas_reduction_kernel_part2ILi512ELi4E21rocblas_finalize_nrm2f16rocblas_bfloat16EviPT2_PT3_.has_recursion, 0
	.set _ZL30rocblas_reduction_kernel_part2ILi512ELi4E21rocblas_finalize_nrm2f16rocblas_bfloat16EviPT2_PT3_.has_indirect_call, 0
	.section	.AMDGPU.csdata,"",@progbits
; Kernel info:
; codeLenInByte = 964
; TotalNumSgprs: 18
; NumVgprs: 9
; ScratchSize: 0
; MemoryBound: 0
; FloatMode: 240
; IeeeMode: 1
; LDSByteSize: 256 bytes/workgroup (compile time only)
; SGPRBlocks: 2
; VGPRBlocks: 2
; NumSGPRsForWavesPerEU: 18
; NumVGPRsForWavesPerEU: 9
; Occupancy: 10
; WaveLimiterHint : 0
; COMPUTE_PGM_RSRC2:SCRATCH_EN: 0
; COMPUTE_PGM_RSRC2:USER_SGPR: 6
; COMPUTE_PGM_RSRC2:TRAP_HANDLER: 0
; COMPUTE_PGM_RSRC2:TGID_X_EN: 1
; COMPUTE_PGM_RSRC2:TGID_Y_EN: 0
; COMPUTE_PGM_RSRC2:TGID_Z_EN: 0
; COMPUTE_PGM_RSRC2:TIDIG_COMP_CNT: 0
	.section	.text._ZL30rocblas_reduction_kernel_part1IiLi512ELi4E18rocblas_fetch_nrm2IfEPKPK16rocblas_bfloat16fEviiT3_lT_liPT4_,"axG",@progbits,_ZL30rocblas_reduction_kernel_part1IiLi512ELi4E18rocblas_fetch_nrm2IfEPKPK16rocblas_bfloat16fEviiT3_lT_liPT4_,comdat
	.globl	_ZL30rocblas_reduction_kernel_part1IiLi512ELi4E18rocblas_fetch_nrm2IfEPKPK16rocblas_bfloat16fEviiT3_lT_liPT4_ ; -- Begin function _ZL30rocblas_reduction_kernel_part1IiLi512ELi4E18rocblas_fetch_nrm2IfEPKPK16rocblas_bfloat16fEviiT3_lT_liPT4_
	.p2align	8
	.type	_ZL30rocblas_reduction_kernel_part1IiLi512ELi4E18rocblas_fetch_nrm2IfEPKPK16rocblas_bfloat16fEviiT3_lT_liPT4_,@function
_ZL30rocblas_reduction_kernel_part1IiLi512ELi4E18rocblas_fetch_nrm2IfEPKPK16rocblas_bfloat16fEviiT3_lT_liPT4_: ; @_ZL30rocblas_reduction_kernel_part1IiLi512ELi4E18rocblas_fetch_nrm2IfEPKPK16rocblas_bfloat16fEviiT3_lT_liPT4_
; %bb.0:
	s_load_dwordx2 s[8:9], s[4:5], 0x0
	v_lshl_or_b32 v1, s6, 9, v0
	v_mov_b32_e32 v2, 0
	s_mov_b32 s2, s7
	s_waitcnt lgkmcnt(0)
	s_ashr_i32 s11, s8, 31
	s_mov_b32 s10, s8
	v_cmp_gt_i64_e32 vcc, s[10:11], v[1:2]
	s_and_saveexec_b64 s[0:1], vcc
	s_cbranch_execz .LBB25_8
; %bb.1:
	s_load_dword s18, s[4:5], 0x18
	s_load_dwordx4 s[12:15], s[4:5], 0x8
	s_mov_b32 s3, 0
	s_lshl_b64 s[16:17], s[2:3], 3
	s_load_dword s7, s[4:5], 0x38
	s_waitcnt lgkmcnt(0)
	s_ashr_i32 s19, s18, 31
	s_add_u32 s12, s12, s16
	s_addc_u32 s13, s13, s17
	v_mad_u64_u32 v[5:6], s[16:17], s18, v1, 0
	s_load_dwordx2 s[12:13], s[12:13], 0x0
	s_lshl_b32 s7, s7, 9
	v_mov_b32_e32 v2, v6
	v_mad_u64_u32 v[2:3], s[16:17], s19, v1, v[2:3]
	s_ashr_i32 s8, s7, 31
	s_lshl_b64 s[14:15], s[14:15], 1
	v_mov_b32_e32 v6, v2
	v_mov_b32_e32 v4, s8
	v_add_co_u32_e32 v3, vcc, s7, v1
	v_lshlrev_b64 v[1:2], 1, v[5:6]
	s_waitcnt lgkmcnt(0)
	s_add_u32 s12, s12, s14
	v_addc_co_u32_e32 v4, vcc, 0, v4, vcc
	s_addc_u32 s13, s13, s15
	v_mov_b32_e32 v6, s13
	v_add_co_u32_e32 v5, vcc, s12, v1
	s_mul_hi_i32 s13, s18, s7
	s_mul_i32 s12, s18, s7
	v_addc_co_u32_e32 v6, vcc, v6, v2, vcc
	s_lshl_b64 s[12:13], s[12:13], 1
	v_mov_b32_e32 v1, 0
	s_mov_b64 s[14:15], 0
	s_mov_b32 s18, 0x7f800000
	s_movk_i32 s19, 0x7fff
	v_mov_b32_e32 v2, 0
	s_branch .LBB25_3
.LBB25_2:                               ;   in Loop: Header=BB25_3 Depth=1
	s_or_b64 exec, exec, s[16:17]
	s_add_i32 s20, s3, 1
	s_cmp_gt_u32 s3, 2
	v_cmp_le_i64_e32 vcc, s[10:11], v[3:4]
	v_and_b32_e32 v7, 0xffff0000, v8
	s_cselect_b64 s[16:17], -1, 0
	v_add_f32_e32 v2, v2, v7
	s_or_b64 s[16:17], s[16:17], vcc
	v_mov_b32_e32 v7, s8
	v_add_co_u32_e32 v3, vcc, s7, v3
	v_addc_co_u32_e32 v4, vcc, v4, v7, vcc
	v_mov_b32_e32 v7, s13
	v_add_co_u32_e32 v5, vcc, s12, v5
	s_and_b64 s[16:17], exec, s[16:17]
	v_addc_co_u32_e32 v6, vcc, v6, v7, vcc
	s_or_b64 s[14:15], s[16:17], s[14:15]
	s_mov_b32 s3, s20
	s_andn2_b64 exec, exec, s[14:15]
	s_cbranch_execz .LBB25_7
.LBB25_3:                               ; =>This Inner Loop Header: Depth=1
	flat_load_ushort v7, v[5:6]
	s_waitcnt vmcnt(0) lgkmcnt(0)
	v_lshlrev_b32_e32 v7, 16, v7
	v_mul_f32_e32 v7, v7, v7
	v_and_b32_e32 v8, 0x7f800000, v7
	v_cmp_ne_u32_e32 vcc, s18, v8
                                        ; implicit-def: $vgpr8
	s_and_saveexec_b64 s[16:17], vcc
	s_xor_b64 s[16:17], exec, s[16:17]
; %bb.4:                                ;   in Loop: Header=BB25_3 Depth=1
	v_bfe_u32 v8, v7, 16, 1
	v_add3_u32 v8, v7, v8, s19
                                        ; implicit-def: $vgpr7
; %bb.5:                                ;   in Loop: Header=BB25_3 Depth=1
	s_andn2_saveexec_b64 s[16:17], s[16:17]
	s_cbranch_execz .LBB25_2
; %bb.6:                                ;   in Loop: Header=BB25_3 Depth=1
	v_or_b32_e32 v8, 0x10000, v7
	v_cmp_eq_u32_sdwa vcc, v7, v1 src0_sel:WORD_0 src1_sel:DWORD
	v_cndmask_b32_e32 v8, v8, v7, vcc
	s_branch .LBB25_2
.LBB25_7:
	s_or_b64 exec, exec, s[14:15]
.LBB25_8:
	s_or_b64 exec, exec, s[0:1]
	v_and_b32_e32 v3, 63, v0
	v_cmp_gt_u32_e32 vcc, 64, v0
	v_lshlrev_b32_e32 v1, 2, v3
	s_and_saveexec_b64 s[0:1], vcc
; %bb.9:
	v_mov_b32_e32 v4, 0
	ds_write_b32 v1, v4
; %bb.10:
	s_or_b64 exec, exec, s[0:1]
	v_mbcnt_lo_u32_b32 v4, -1, 0
	v_mbcnt_hi_u32_b32 v5, -1, v4
	v_mov_b32_e32 v4, 0x80
	v_lshl_or_b32 v4, v5, 2, v4
	ds_bpermute_b32 v4, v4, v2
	v_and_b32_e32 v6, 63, v5
	v_cmp_gt_u32_e64 s[0:1], 48, v6
	v_cndmask_b32_e64 v7, 0, 16, s[0:1]
	v_cmp_gt_u32_e64 s[0:1], 56, v6
	s_waitcnt lgkmcnt(0)
	v_add_f32_e32 v2, v2, v4
	v_add_lshl_u32 v4, v7, v5, 2
	ds_bpermute_b32 v4, v4, v2
	v_cndmask_b32_e64 v7, 0, 8, s[0:1]
	v_add_lshl_u32 v7, v7, v5, 2
	v_cmp_gt_u32_e64 s[0:1], 60, v6
	s_waitcnt lgkmcnt(0)
	v_add_f32_e32 v4, v2, v4
	ds_bpermute_b32 v7, v7, v4
	v_cndmask_b32_e64 v2, 0, 4, s[0:1]
	v_add_lshl_u32 v2, v2, v5, 2
	v_cmp_gt_u32_e64 s[0:1], 62, v6
	s_waitcnt lgkmcnt(0)
	s_barrier
	v_add_f32_e32 v7, v4, v7
	ds_bpermute_b32 v8, v2, v7
	v_cndmask_b32_e64 v4, 0, 2, s[0:1]
	v_add_lshl_u32 v4, v4, v5, 2
	v_cmp_ne_u32_e64 s[0:1], 63, v6
	v_addc_co_u32_e64 v5, s[0:1], 0, v5, s[0:1]
	s_waitcnt lgkmcnt(0)
	v_add_f32_e32 v7, v7, v8
	ds_bpermute_b32 v8, v4, v7
	v_lshlrev_b32_e32 v5, 2, v5
	v_cmp_eq_u32_e64 s[0:1], 0, v3
	s_waitcnt lgkmcnt(0)
	v_add_f32_e32 v6, v7, v8
	ds_bpermute_b32 v7, v5, v6
	s_and_saveexec_b64 s[10:11], s[0:1]
	s_cbranch_execz .LBB25_12
; %bb.11:
	s_waitcnt lgkmcnt(0)
	v_add_f32_e32 v3, v6, v7
	v_lshrrev_b32_e32 v6, 4, v0
	v_and_b32_e32 v6, 28, v6
	ds_write_b32 v6, v3
.LBB25_12:
	s_or_b64 exec, exec, s[10:11]
	v_cmp_gt_u32_e64 s[0:1], 8, v0
	v_mov_b32_e32 v3, 0
	s_waitcnt lgkmcnt(0)
	s_barrier
	s_and_saveexec_b64 s[10:11], s[0:1]
; %bb.13:
	ds_read_b32 v3, v1
; %bb.14:
	s_or_b64 exec, exec, s[10:11]
	s_and_saveexec_b64 s[0:1], vcc
	s_cbranch_execz .LBB25_16
; %bb.15:
	s_waitcnt lgkmcnt(0)
	ds_bpermute_b32 v1, v2, v3
	s_waitcnt lgkmcnt(0)
	v_add_f32_e32 v1, v3, v1
	ds_bpermute_b32 v2, v4, v1
	s_waitcnt lgkmcnt(0)
	v_add_f32_e32 v1, v1, v2
	;; [unrolled: 3-line block ×3, first 2 shown]
.LBB25_16:
	s_or_b64 exec, exec, s[0:1]
	s_mov_b32 s1, 0
	v_cmp_eq_u32_e32 vcc, 0, v0
	s_and_saveexec_b64 s[10:11], vcc
	s_cbranch_execz .LBB25_18
; %bb.17:
	s_load_dwordx2 s[4:5], s[4:5], 0x30
	s_mul_i32 s0, s9, s2
	s_add_i32 s0, s0, s6
	s_lshl_b64 s[0:1], s[0:1], 2
	v_mov_b32_e32 v0, 0
	s_waitcnt lgkmcnt(0)
	s_add_u32 s0, s4, s0
	s_addc_u32 s1, s5, s1
	global_store_dword v0, v3, s[0:1]
.LBB25_18:
	s_endpgm
	.section	.rodata,"a",@progbits
	.p2align	6, 0x0
	.amdhsa_kernel _ZL30rocblas_reduction_kernel_part1IiLi512ELi4E18rocblas_fetch_nrm2IfEPKPK16rocblas_bfloat16fEviiT3_lT_liPT4_
		.amdhsa_group_segment_fixed_size 256
		.amdhsa_private_segment_fixed_size 0
		.amdhsa_kernarg_size 312
		.amdhsa_user_sgpr_count 6
		.amdhsa_user_sgpr_private_segment_buffer 1
		.amdhsa_user_sgpr_dispatch_ptr 0
		.amdhsa_user_sgpr_queue_ptr 0
		.amdhsa_user_sgpr_kernarg_segment_ptr 1
		.amdhsa_user_sgpr_dispatch_id 0
		.amdhsa_user_sgpr_flat_scratch_init 0
		.amdhsa_user_sgpr_private_segment_size 0
		.amdhsa_uses_dynamic_stack 0
		.amdhsa_system_sgpr_private_segment_wavefront_offset 0
		.amdhsa_system_sgpr_workgroup_id_x 1
		.amdhsa_system_sgpr_workgroup_id_y 0
		.amdhsa_system_sgpr_workgroup_id_z 1
		.amdhsa_system_sgpr_workgroup_info 0
		.amdhsa_system_vgpr_workitem_id 0
		.amdhsa_next_free_vgpr 9
		.amdhsa_next_free_sgpr 21
		.amdhsa_reserve_vcc 1
		.amdhsa_reserve_flat_scratch 0
		.amdhsa_float_round_mode_32 0
		.amdhsa_float_round_mode_16_64 0
		.amdhsa_float_denorm_mode_32 3
		.amdhsa_float_denorm_mode_16_64 3
		.amdhsa_dx10_clamp 1
		.amdhsa_ieee_mode 1
		.amdhsa_fp16_overflow 0
		.amdhsa_exception_fp_ieee_invalid_op 0
		.amdhsa_exception_fp_denorm_src 0
		.amdhsa_exception_fp_ieee_div_zero 0
		.amdhsa_exception_fp_ieee_overflow 0
		.amdhsa_exception_fp_ieee_underflow 0
		.amdhsa_exception_fp_ieee_inexact 0
		.amdhsa_exception_int_div_zero 0
	.end_amdhsa_kernel
	.section	.text._ZL30rocblas_reduction_kernel_part1IiLi512ELi4E18rocblas_fetch_nrm2IfEPKPK16rocblas_bfloat16fEviiT3_lT_liPT4_,"axG",@progbits,_ZL30rocblas_reduction_kernel_part1IiLi512ELi4E18rocblas_fetch_nrm2IfEPKPK16rocblas_bfloat16fEviiT3_lT_liPT4_,comdat
.Lfunc_end25:
	.size	_ZL30rocblas_reduction_kernel_part1IiLi512ELi4E18rocblas_fetch_nrm2IfEPKPK16rocblas_bfloat16fEviiT3_lT_liPT4_, .Lfunc_end25-_ZL30rocblas_reduction_kernel_part1IiLi512ELi4E18rocblas_fetch_nrm2IfEPKPK16rocblas_bfloat16fEviiT3_lT_liPT4_
                                        ; -- End function
	.set _ZL30rocblas_reduction_kernel_part1IiLi512ELi4E18rocblas_fetch_nrm2IfEPKPK16rocblas_bfloat16fEviiT3_lT_liPT4_.num_vgpr, 9
	.set _ZL30rocblas_reduction_kernel_part1IiLi512ELi4E18rocblas_fetch_nrm2IfEPKPK16rocblas_bfloat16fEviiT3_lT_liPT4_.num_agpr, 0
	.set _ZL30rocblas_reduction_kernel_part1IiLi512ELi4E18rocblas_fetch_nrm2IfEPKPK16rocblas_bfloat16fEviiT3_lT_liPT4_.numbered_sgpr, 21
	.set _ZL30rocblas_reduction_kernel_part1IiLi512ELi4E18rocblas_fetch_nrm2IfEPKPK16rocblas_bfloat16fEviiT3_lT_liPT4_.num_named_barrier, 0
	.set _ZL30rocblas_reduction_kernel_part1IiLi512ELi4E18rocblas_fetch_nrm2IfEPKPK16rocblas_bfloat16fEviiT3_lT_liPT4_.private_seg_size, 0
	.set _ZL30rocblas_reduction_kernel_part1IiLi512ELi4E18rocblas_fetch_nrm2IfEPKPK16rocblas_bfloat16fEviiT3_lT_liPT4_.uses_vcc, 1
	.set _ZL30rocblas_reduction_kernel_part1IiLi512ELi4E18rocblas_fetch_nrm2IfEPKPK16rocblas_bfloat16fEviiT3_lT_liPT4_.uses_flat_scratch, 0
	.set _ZL30rocblas_reduction_kernel_part1IiLi512ELi4E18rocblas_fetch_nrm2IfEPKPK16rocblas_bfloat16fEviiT3_lT_liPT4_.has_dyn_sized_stack, 0
	.set _ZL30rocblas_reduction_kernel_part1IiLi512ELi4E18rocblas_fetch_nrm2IfEPKPK16rocblas_bfloat16fEviiT3_lT_liPT4_.has_recursion, 0
	.set _ZL30rocblas_reduction_kernel_part1IiLi512ELi4E18rocblas_fetch_nrm2IfEPKPK16rocblas_bfloat16fEviiT3_lT_liPT4_.has_indirect_call, 0
	.section	.AMDGPU.csdata,"",@progbits
; Kernel info:
; codeLenInByte = 884
; TotalNumSgprs: 25
; NumVgprs: 9
; ScratchSize: 0
; MemoryBound: 0
; FloatMode: 240
; IeeeMode: 1
; LDSByteSize: 256 bytes/workgroup (compile time only)
; SGPRBlocks: 3
; VGPRBlocks: 2
; NumSGPRsForWavesPerEU: 25
; NumVGPRsForWavesPerEU: 9
; Occupancy: 10
; WaveLimiterHint : 0
; COMPUTE_PGM_RSRC2:SCRATCH_EN: 0
; COMPUTE_PGM_RSRC2:USER_SGPR: 6
; COMPUTE_PGM_RSRC2:TRAP_HANDLER: 0
; COMPUTE_PGM_RSRC2:TGID_X_EN: 1
; COMPUTE_PGM_RSRC2:TGID_Y_EN: 0
; COMPUTE_PGM_RSRC2:TGID_Z_EN: 1
; COMPUTE_PGM_RSRC2:TIDIG_COMP_CNT: 0
	.section	.AMDGPU.gpr_maximums,"",@progbits
	.set amdgpu.max_num_vgpr, 0
	.set amdgpu.max_num_agpr, 0
	.set amdgpu.max_num_sgpr, 0
	.section	.AMDGPU.csdata,"",@progbits
	.type	__hip_cuid_69b71287842548a4,@object ; @__hip_cuid_69b71287842548a4
	.section	.bss,"aw",@nobits
	.globl	__hip_cuid_69b71287842548a4
__hip_cuid_69b71287842548a4:
	.byte	0                               ; 0x0
	.size	__hip_cuid_69b71287842548a4, 1

	.ident	"AMD clang version 22.0.0git (https://github.com/RadeonOpenCompute/llvm-project roc-7.2.4 26084 f58b06dce1f9c15707c5f808fd002e18c2accf7e)"
	.section	".note.GNU-stack","",@progbits
	.addrsig
	.addrsig_sym __hip_cuid_69b71287842548a4
	.amdgpu_metadata
---
amdhsa.kernels:
  - .args:
      - .offset:         0
        .size:           4
        .value_kind:     by_value
      - .offset:         4
        .size:           4
        .value_kind:     by_value
      - .address_space:  global
        .offset:         8
        .size:           8
        .value_kind:     global_buffer
      - .offset:         16
        .size:           8
        .value_kind:     by_value
      - .offset:         24
        .size:           4
        .value_kind:     by_value
      - .offset:         32
        .size:           8
        .value_kind:     by_value
      - .offset:         40
        .size:           4
        .value_kind:     by_value
      - .address_space:  global
        .offset:         48
        .size:           8
        .value_kind:     global_buffer
      - .offset:         56
        .size:           4
        .value_kind:     hidden_block_count_x
      - .offset:         60
        .size:           4
        .value_kind:     hidden_block_count_y
      - .offset:         64
        .size:           4
        .value_kind:     hidden_block_count_z
      - .offset:         68
        .size:           2
        .value_kind:     hidden_group_size_x
      - .offset:         70
        .size:           2
        .value_kind:     hidden_group_size_y
      - .offset:         72
        .size:           2
        .value_kind:     hidden_group_size_z
      - .offset:         74
        .size:           2
        .value_kind:     hidden_remainder_x
      - .offset:         76
        .size:           2
        .value_kind:     hidden_remainder_y
      - .offset:         78
        .size:           2
        .value_kind:     hidden_remainder_z
      - .offset:         96
        .size:           8
        .value_kind:     hidden_global_offset_x
      - .offset:         104
        .size:           8
        .value_kind:     hidden_global_offset_y
      - .offset:         112
        .size:           8
        .value_kind:     hidden_global_offset_z
      - .offset:         120
        .size:           2
        .value_kind:     hidden_grid_dims
    .group_segment_fixed_size: 256
    .kernarg_segment_align: 8
    .kernarg_segment_size: 312
    .language:       OpenCL C
    .language_version:
      - 2
      - 0
    .max_flat_workgroup_size: 512
    .name:           _ZL30rocblas_reduction_kernel_part1IiLi512ELi4E18rocblas_fetch_asumIfEPKffEviiT3_lT_liPT4_
    .private_segment_fixed_size: 0
    .sgpr_count:     27
    .sgpr_spill_count: 0
    .symbol:         _ZL30rocblas_reduction_kernel_part1IiLi512ELi4E18rocblas_fetch_asumIfEPKffEviiT3_lT_liPT4_.kd
    .uniform_work_group_size: 1
    .uses_dynamic_stack: false
    .vgpr_count:     9
    .vgpr_spill_count: 0
    .wavefront_size: 64
  - .args:
      - .offset:         0
        .size:           4
        .value_kind:     by_value
      - .actual_access:  read_only
        .address_space:  global
        .offset:         8
        .size:           8
        .value_kind:     global_buffer
      - .actual_access:  write_only
        .address_space:  global
        .offset:         16
        .size:           8
        .value_kind:     global_buffer
    .group_segment_fixed_size: 256
    .kernarg_segment_align: 8
    .kernarg_segment_size: 24
    .language:       OpenCL C
    .language_version:
      - 2
      - 0
    .max_flat_workgroup_size: 512
    .name:           _ZL30rocblas_reduction_kernel_part2ILi512ELi4E25rocblas_finalize_identityffEviPT2_PT3_
    .private_segment_fixed_size: 0
    .sgpr_count:     18
    .sgpr_spill_count: 0
    .symbol:         _ZL30rocblas_reduction_kernel_part2ILi512ELi4E25rocblas_finalize_identityffEviPT2_PT3_.kd
    .uniform_work_group_size: 1
    .uses_dynamic_stack: false
    .vgpr_count:     9
    .vgpr_spill_count: 0
    .wavefront_size: 64
  - .args:
      - .offset:         0
        .size:           4
        .value_kind:     by_value
      - .offset:         4
        .size:           4
        .value_kind:     by_value
      - .address_space:  global
        .offset:         8
        .size:           8
        .value_kind:     global_buffer
      - .offset:         16
        .size:           8
        .value_kind:     by_value
      - .offset:         24
        .size:           4
        .value_kind:     by_value
      - .offset:         32
        .size:           8
        .value_kind:     by_value
      - .offset:         40
        .size:           4
        .value_kind:     by_value
      - .address_space:  global
        .offset:         48
        .size:           8
        .value_kind:     global_buffer
      - .offset:         56
        .size:           4
        .value_kind:     hidden_block_count_x
      - .offset:         60
        .size:           4
        .value_kind:     hidden_block_count_y
      - .offset:         64
        .size:           4
        .value_kind:     hidden_block_count_z
      - .offset:         68
        .size:           2
        .value_kind:     hidden_group_size_x
      - .offset:         70
        .size:           2
        .value_kind:     hidden_group_size_y
      - .offset:         72
        .size:           2
        .value_kind:     hidden_group_size_z
      - .offset:         74
        .size:           2
        .value_kind:     hidden_remainder_x
      - .offset:         76
        .size:           2
        .value_kind:     hidden_remainder_y
      - .offset:         78
        .size:           2
        .value_kind:     hidden_remainder_z
      - .offset:         96
        .size:           8
        .value_kind:     hidden_global_offset_x
      - .offset:         104
        .size:           8
        .value_kind:     hidden_global_offset_y
      - .offset:         112
        .size:           8
        .value_kind:     hidden_global_offset_z
      - .offset:         120
        .size:           2
        .value_kind:     hidden_grid_dims
    .group_segment_fixed_size: 256
    .kernarg_segment_align: 8
    .kernarg_segment_size: 312
    .language:       OpenCL C
    .language_version:
      - 2
      - 0
    .max_flat_workgroup_size: 512
    .name:           _ZL30rocblas_reduction_kernel_part1IiLi512ELi4E18rocblas_fetch_asumIfEPKPKffEviiT3_lT_liPT4_
    .private_segment_fixed_size: 0
    .sgpr_count:     26
    .sgpr_spill_count: 0
    .symbol:         _ZL30rocblas_reduction_kernel_part1IiLi512ELi4E18rocblas_fetch_asumIfEPKPKffEviiT3_lT_liPT4_.kd
    .uniform_work_group_size: 1
    .uses_dynamic_stack: false
    .vgpr_count:     9
    .vgpr_spill_count: 0
    .wavefront_size: 64
  - .args:
      - .offset:         0
        .size:           4
        .value_kind:     by_value
      - .offset:         4
        .size:           4
        .value_kind:     by_value
      - .address_space:  global
        .offset:         8
        .size:           8
        .value_kind:     global_buffer
      - .offset:         16
        .size:           8
        .value_kind:     by_value
      - .offset:         24
        .size:           4
        .value_kind:     by_value
      - .offset:         32
        .size:           8
        .value_kind:     by_value
      - .offset:         40
        .size:           4
        .value_kind:     by_value
      - .address_space:  global
        .offset:         48
        .size:           8
        .value_kind:     global_buffer
      - .offset:         56
        .size:           4
        .value_kind:     hidden_block_count_x
      - .offset:         60
        .size:           4
        .value_kind:     hidden_block_count_y
      - .offset:         64
        .size:           4
        .value_kind:     hidden_block_count_z
      - .offset:         68
        .size:           2
        .value_kind:     hidden_group_size_x
      - .offset:         70
        .size:           2
        .value_kind:     hidden_group_size_y
      - .offset:         72
        .size:           2
        .value_kind:     hidden_group_size_z
      - .offset:         74
        .size:           2
        .value_kind:     hidden_remainder_x
      - .offset:         76
        .size:           2
        .value_kind:     hidden_remainder_y
      - .offset:         78
        .size:           2
        .value_kind:     hidden_remainder_z
      - .offset:         96
        .size:           8
        .value_kind:     hidden_global_offset_x
      - .offset:         104
        .size:           8
        .value_kind:     hidden_global_offset_y
      - .offset:         112
        .size:           8
        .value_kind:     hidden_global_offset_z
      - .offset:         120
        .size:           2
        .value_kind:     hidden_grid_dims
    .group_segment_fixed_size: 512
    .kernarg_segment_align: 8
    .kernarg_segment_size: 312
    .language:       OpenCL C
    .language_version:
      - 2
      - 0
    .max_flat_workgroup_size: 512
    .name:           _ZL30rocblas_reduction_kernel_part1IiLi512ELi2E18rocblas_fetch_asumIdEPKddEviiT3_lT_liPT4_
    .private_segment_fixed_size: 0
    .sgpr_count:     25
    .sgpr_spill_count: 0
    .symbol:         _ZL30rocblas_reduction_kernel_part1IiLi512ELi2E18rocblas_fetch_asumIdEPKddEviiT3_lT_liPT4_.kd
    .uniform_work_group_size: 1
    .uses_dynamic_stack: false
    .vgpr_count:     11
    .vgpr_spill_count: 0
    .wavefront_size: 64
  - .args:
      - .offset:         0
        .size:           4
        .value_kind:     by_value
      - .actual_access:  read_only
        .address_space:  global
        .offset:         8
        .size:           8
        .value_kind:     global_buffer
      - .actual_access:  write_only
        .address_space:  global
        .offset:         16
        .size:           8
        .value_kind:     global_buffer
    .group_segment_fixed_size: 512
    .kernarg_segment_align: 8
    .kernarg_segment_size: 24
    .language:       OpenCL C
    .language_version:
      - 2
      - 0
    .max_flat_workgroup_size: 512
    .name:           _ZL30rocblas_reduction_kernel_part2ILi512ELi2E25rocblas_finalize_identityddEviPT2_PT3_
    .private_segment_fixed_size: 0
    .sgpr_count:     20
    .sgpr_spill_count: 0
    .symbol:         _ZL30rocblas_reduction_kernel_part2ILi512ELi2E25rocblas_finalize_identityddEviPT2_PT3_.kd
    .uniform_work_group_size: 1
    .uses_dynamic_stack: false
    .vgpr_count:     11
    .vgpr_spill_count: 0
    .wavefront_size: 64
  - .args:
      - .offset:         0
        .size:           4
        .value_kind:     by_value
      - .offset:         4
        .size:           4
        .value_kind:     by_value
      - .address_space:  global
        .offset:         8
        .size:           8
        .value_kind:     global_buffer
      - .offset:         16
        .size:           8
        .value_kind:     by_value
      - .offset:         24
        .size:           4
        .value_kind:     by_value
      - .offset:         32
        .size:           8
        .value_kind:     by_value
      - .offset:         40
        .size:           4
        .value_kind:     by_value
      - .address_space:  global
        .offset:         48
        .size:           8
        .value_kind:     global_buffer
      - .offset:         56
        .size:           4
        .value_kind:     hidden_block_count_x
      - .offset:         60
        .size:           4
        .value_kind:     hidden_block_count_y
      - .offset:         64
        .size:           4
        .value_kind:     hidden_block_count_z
      - .offset:         68
        .size:           2
        .value_kind:     hidden_group_size_x
      - .offset:         70
        .size:           2
        .value_kind:     hidden_group_size_y
      - .offset:         72
        .size:           2
        .value_kind:     hidden_group_size_z
      - .offset:         74
        .size:           2
        .value_kind:     hidden_remainder_x
      - .offset:         76
        .size:           2
        .value_kind:     hidden_remainder_y
      - .offset:         78
        .size:           2
        .value_kind:     hidden_remainder_z
      - .offset:         96
        .size:           8
        .value_kind:     hidden_global_offset_x
      - .offset:         104
        .size:           8
        .value_kind:     hidden_global_offset_y
      - .offset:         112
        .size:           8
        .value_kind:     hidden_global_offset_z
      - .offset:         120
        .size:           2
        .value_kind:     hidden_grid_dims
    .group_segment_fixed_size: 512
    .kernarg_segment_align: 8
    .kernarg_segment_size: 312
    .language:       OpenCL C
    .language_version:
      - 2
      - 0
    .max_flat_workgroup_size: 512
    .name:           _ZL30rocblas_reduction_kernel_part1IiLi512ELi2E18rocblas_fetch_asumIdEPKPKddEviiT3_lT_liPT4_
    .private_segment_fixed_size: 0
    .sgpr_count:     25
    .sgpr_spill_count: 0
    .symbol:         _ZL30rocblas_reduction_kernel_part1IiLi512ELi2E18rocblas_fetch_asumIdEPKPKddEviiT3_lT_liPT4_.kd
    .uniform_work_group_size: 1
    .uses_dynamic_stack: false
    .vgpr_count:     11
    .vgpr_spill_count: 0
    .wavefront_size: 64
  - .args:
      - .offset:         0
        .size:           4
        .value_kind:     by_value
      - .offset:         4
        .size:           4
        .value_kind:     by_value
      - .address_space:  global
        .offset:         8
        .size:           8
        .value_kind:     global_buffer
      - .offset:         16
        .size:           8
        .value_kind:     by_value
      - .offset:         24
        .size:           4
        .value_kind:     by_value
      - .offset:         32
        .size:           8
        .value_kind:     by_value
      - .offset:         40
        .size:           4
        .value_kind:     by_value
      - .address_space:  global
        .offset:         48
        .size:           8
        .value_kind:     global_buffer
      - .offset:         56
        .size:           4
        .value_kind:     hidden_block_count_x
      - .offset:         60
        .size:           4
        .value_kind:     hidden_block_count_y
      - .offset:         64
        .size:           4
        .value_kind:     hidden_block_count_z
      - .offset:         68
        .size:           2
        .value_kind:     hidden_group_size_x
      - .offset:         70
        .size:           2
        .value_kind:     hidden_group_size_y
      - .offset:         72
        .size:           2
        .value_kind:     hidden_group_size_z
      - .offset:         74
        .size:           2
        .value_kind:     hidden_remainder_x
      - .offset:         76
        .size:           2
        .value_kind:     hidden_remainder_y
      - .offset:         78
        .size:           2
        .value_kind:     hidden_remainder_z
      - .offset:         96
        .size:           8
        .value_kind:     hidden_global_offset_x
      - .offset:         104
        .size:           8
        .value_kind:     hidden_global_offset_y
      - .offset:         112
        .size:           8
        .value_kind:     hidden_global_offset_z
      - .offset:         120
        .size:           2
        .value_kind:     hidden_grid_dims
    .group_segment_fixed_size: 256
    .kernarg_segment_align: 8
    .kernarg_segment_size: 312
    .language:       OpenCL C
    .language_version:
      - 2
      - 0
    .max_flat_workgroup_size: 512
    .name:           _ZL30rocblas_reduction_kernel_part1IiLi512ELi4E18rocblas_fetch_asumIfEPK19rocblas_complex_numIfEfEviiT3_lT_liPT4_
    .private_segment_fixed_size: 0
    .sgpr_count:     27
    .sgpr_spill_count: 0
    .symbol:         _ZL30rocblas_reduction_kernel_part1IiLi512ELi4E18rocblas_fetch_asumIfEPK19rocblas_complex_numIfEfEviiT3_lT_liPT4_.kd
    .uniform_work_group_size: 1
    .uses_dynamic_stack: false
    .vgpr_count:     10
    .vgpr_spill_count: 0
    .wavefront_size: 64
  - .args:
      - .offset:         0
        .size:           4
        .value_kind:     by_value
      - .offset:         4
        .size:           4
        .value_kind:     by_value
      - .address_space:  global
        .offset:         8
        .size:           8
        .value_kind:     global_buffer
      - .offset:         16
        .size:           8
        .value_kind:     by_value
      - .offset:         24
        .size:           4
        .value_kind:     by_value
      - .offset:         32
        .size:           8
        .value_kind:     by_value
      - .offset:         40
        .size:           4
        .value_kind:     by_value
      - .address_space:  global
        .offset:         48
        .size:           8
        .value_kind:     global_buffer
      - .offset:         56
        .size:           4
        .value_kind:     hidden_block_count_x
      - .offset:         60
        .size:           4
        .value_kind:     hidden_block_count_y
      - .offset:         64
        .size:           4
        .value_kind:     hidden_block_count_z
      - .offset:         68
        .size:           2
        .value_kind:     hidden_group_size_x
      - .offset:         70
        .size:           2
        .value_kind:     hidden_group_size_y
      - .offset:         72
        .size:           2
        .value_kind:     hidden_group_size_z
      - .offset:         74
        .size:           2
        .value_kind:     hidden_remainder_x
      - .offset:         76
        .size:           2
        .value_kind:     hidden_remainder_y
      - .offset:         78
        .size:           2
        .value_kind:     hidden_remainder_z
      - .offset:         96
        .size:           8
        .value_kind:     hidden_global_offset_x
      - .offset:         104
        .size:           8
        .value_kind:     hidden_global_offset_y
      - .offset:         112
        .size:           8
        .value_kind:     hidden_global_offset_z
      - .offset:         120
        .size:           2
        .value_kind:     hidden_grid_dims
    .group_segment_fixed_size: 256
    .kernarg_segment_align: 8
    .kernarg_segment_size: 312
    .language:       OpenCL C
    .language_version:
      - 2
      - 0
    .max_flat_workgroup_size: 512
    .name:           _ZL30rocblas_reduction_kernel_part1IiLi512ELi4E18rocblas_fetch_asumIfEPKPK19rocblas_complex_numIfEfEviiT3_lT_liPT4_
    .private_segment_fixed_size: 0
    .sgpr_count:     26
    .sgpr_spill_count: 0
    .symbol:         _ZL30rocblas_reduction_kernel_part1IiLi512ELi4E18rocblas_fetch_asumIfEPKPK19rocblas_complex_numIfEfEviiT3_lT_liPT4_.kd
    .uniform_work_group_size: 1
    .uses_dynamic_stack: false
    .vgpr_count:     10
    .vgpr_spill_count: 0
    .wavefront_size: 64
  - .args:
      - .offset:         0
        .size:           4
        .value_kind:     by_value
      - .offset:         4
        .size:           4
        .value_kind:     by_value
      - .address_space:  global
        .offset:         8
        .size:           8
        .value_kind:     global_buffer
      - .offset:         16
        .size:           8
        .value_kind:     by_value
      - .offset:         24
        .size:           4
        .value_kind:     by_value
      - .offset:         32
        .size:           8
        .value_kind:     by_value
      - .offset:         40
        .size:           4
        .value_kind:     by_value
      - .address_space:  global
        .offset:         48
        .size:           8
        .value_kind:     global_buffer
      - .offset:         56
        .size:           4
        .value_kind:     hidden_block_count_x
      - .offset:         60
        .size:           4
        .value_kind:     hidden_block_count_y
      - .offset:         64
        .size:           4
        .value_kind:     hidden_block_count_z
      - .offset:         68
        .size:           2
        .value_kind:     hidden_group_size_x
      - .offset:         70
        .size:           2
        .value_kind:     hidden_group_size_y
      - .offset:         72
        .size:           2
        .value_kind:     hidden_group_size_z
      - .offset:         74
        .size:           2
        .value_kind:     hidden_remainder_x
      - .offset:         76
        .size:           2
        .value_kind:     hidden_remainder_y
      - .offset:         78
        .size:           2
        .value_kind:     hidden_remainder_z
      - .offset:         96
        .size:           8
        .value_kind:     hidden_global_offset_x
      - .offset:         104
        .size:           8
        .value_kind:     hidden_global_offset_y
      - .offset:         112
        .size:           8
        .value_kind:     hidden_global_offset_z
      - .offset:         120
        .size:           2
        .value_kind:     hidden_grid_dims
    .group_segment_fixed_size: 512
    .kernarg_segment_align: 8
    .kernarg_segment_size: 312
    .language:       OpenCL C
    .language_version:
      - 2
      - 0
    .max_flat_workgroup_size: 512
    .name:           _ZL30rocblas_reduction_kernel_part1IiLi512ELi2E18rocblas_fetch_asumIdEPK19rocblas_complex_numIdEdEviiT3_lT_liPT4_
    .private_segment_fixed_size: 0
    .sgpr_count:     25
    .sgpr_spill_count: 0
    .symbol:         _ZL30rocblas_reduction_kernel_part1IiLi512ELi2E18rocblas_fetch_asumIdEPK19rocblas_complex_numIdEdEviiT3_lT_liPT4_.kd
    .uniform_work_group_size: 1
    .uses_dynamic_stack: false
    .vgpr_count:     11
    .vgpr_spill_count: 0
    .wavefront_size: 64
  - .args:
      - .offset:         0
        .size:           4
        .value_kind:     by_value
      - .offset:         4
        .size:           4
        .value_kind:     by_value
      - .address_space:  global
        .offset:         8
        .size:           8
        .value_kind:     global_buffer
      - .offset:         16
        .size:           8
        .value_kind:     by_value
      - .offset:         24
        .size:           4
        .value_kind:     by_value
      - .offset:         32
        .size:           8
        .value_kind:     by_value
      - .offset:         40
        .size:           4
        .value_kind:     by_value
      - .address_space:  global
        .offset:         48
        .size:           8
        .value_kind:     global_buffer
      - .offset:         56
        .size:           4
        .value_kind:     hidden_block_count_x
      - .offset:         60
        .size:           4
        .value_kind:     hidden_block_count_y
      - .offset:         64
        .size:           4
        .value_kind:     hidden_block_count_z
      - .offset:         68
        .size:           2
        .value_kind:     hidden_group_size_x
      - .offset:         70
        .size:           2
        .value_kind:     hidden_group_size_y
      - .offset:         72
        .size:           2
        .value_kind:     hidden_group_size_z
      - .offset:         74
        .size:           2
        .value_kind:     hidden_remainder_x
      - .offset:         76
        .size:           2
        .value_kind:     hidden_remainder_y
      - .offset:         78
        .size:           2
        .value_kind:     hidden_remainder_z
      - .offset:         96
        .size:           8
        .value_kind:     hidden_global_offset_x
      - .offset:         104
        .size:           8
        .value_kind:     hidden_global_offset_y
      - .offset:         112
        .size:           8
        .value_kind:     hidden_global_offset_z
      - .offset:         120
        .size:           2
        .value_kind:     hidden_grid_dims
    .group_segment_fixed_size: 512
    .kernarg_segment_align: 8
    .kernarg_segment_size: 312
    .language:       OpenCL C
    .language_version:
      - 2
      - 0
    .max_flat_workgroup_size: 512
    .name:           _ZL30rocblas_reduction_kernel_part1IiLi512ELi2E18rocblas_fetch_asumIdEPKPK19rocblas_complex_numIdEdEviiT3_lT_liPT4_
    .private_segment_fixed_size: 0
    .sgpr_count:     25
    .sgpr_spill_count: 0
    .symbol:         _ZL30rocblas_reduction_kernel_part1IiLi512ELi2E18rocblas_fetch_asumIdEPKPK19rocblas_complex_numIdEdEviiT3_lT_liPT4_.kd
    .uniform_work_group_size: 1
    .uses_dynamic_stack: false
    .vgpr_count:     11
    .vgpr_spill_count: 0
    .wavefront_size: 64
  - .args:
      - .offset:         0
        .size:           4
        .value_kind:     by_value
      - .offset:         4
        .size:           4
        .value_kind:     by_value
      - .address_space:  global
        .offset:         8
        .size:           8
        .value_kind:     global_buffer
      - .offset:         16
        .size:           8
        .value_kind:     by_value
      - .offset:         24
        .size:           4
        .value_kind:     by_value
      - .offset:         32
        .size:           8
        .value_kind:     by_value
      - .offset:         40
        .size:           4
        .value_kind:     by_value
      - .address_space:  global
        .offset:         48
        .size:           8
        .value_kind:     global_buffer
      - .offset:         56
        .size:           4
        .value_kind:     hidden_block_count_x
      - .offset:         60
        .size:           4
        .value_kind:     hidden_block_count_y
      - .offset:         64
        .size:           4
        .value_kind:     hidden_block_count_z
      - .offset:         68
        .size:           2
        .value_kind:     hidden_group_size_x
      - .offset:         70
        .size:           2
        .value_kind:     hidden_group_size_y
      - .offset:         72
        .size:           2
        .value_kind:     hidden_group_size_z
      - .offset:         74
        .size:           2
        .value_kind:     hidden_remainder_x
      - .offset:         76
        .size:           2
        .value_kind:     hidden_remainder_y
      - .offset:         78
        .size:           2
        .value_kind:     hidden_remainder_z
      - .offset:         96
        .size:           8
        .value_kind:     hidden_global_offset_x
      - .offset:         104
        .size:           8
        .value_kind:     hidden_global_offset_y
      - .offset:         112
        .size:           8
        .value_kind:     hidden_global_offset_z
      - .offset:         120
        .size:           2
        .value_kind:     hidden_grid_dims
    .group_segment_fixed_size: 256
    .kernarg_segment_align: 8
    .kernarg_segment_size: 312
    .language:       OpenCL C
    .language_version:
      - 2
      - 0
    .max_flat_workgroup_size: 512
    .name:           _ZL30rocblas_reduction_kernel_part1IiLi512ELi4E18rocblas_fetch_nrm2IfEPKffEviiT3_lT_liPT4_
    .private_segment_fixed_size: 0
    .sgpr_count:     27
    .sgpr_spill_count: 0
    .symbol:         _ZL30rocblas_reduction_kernel_part1IiLi512ELi4E18rocblas_fetch_nrm2IfEPKffEviiT3_lT_liPT4_.kd
    .uniform_work_group_size: 1
    .uses_dynamic_stack: false
    .vgpr_count:     9
    .vgpr_spill_count: 0
    .wavefront_size: 64
  - .args:
      - .offset:         0
        .size:           4
        .value_kind:     by_value
      - .actual_access:  read_only
        .address_space:  global
        .offset:         8
        .size:           8
        .value_kind:     global_buffer
      - .actual_access:  write_only
        .address_space:  global
        .offset:         16
        .size:           8
        .value_kind:     global_buffer
    .group_segment_fixed_size: 256
    .kernarg_segment_align: 8
    .kernarg_segment_size: 24
    .language:       OpenCL C
    .language_version:
      - 2
      - 0
    .max_flat_workgroup_size: 512
    .name:           _ZL30rocblas_reduction_kernel_part2ILi512ELi4E21rocblas_finalize_nrm2ffEviPT2_PT3_
    .private_segment_fixed_size: 0
    .sgpr_count:     18
    .sgpr_spill_count: 0
    .symbol:         _ZL30rocblas_reduction_kernel_part2ILi512ELi4E21rocblas_finalize_nrm2ffEviPT2_PT3_.kd
    .uniform_work_group_size: 1
    .uses_dynamic_stack: false
    .vgpr_count:     9
    .vgpr_spill_count: 0
    .wavefront_size: 64
  - .args:
      - .offset:         0
        .size:           4
        .value_kind:     by_value
      - .offset:         4
        .size:           4
        .value_kind:     by_value
      - .address_space:  global
        .offset:         8
        .size:           8
        .value_kind:     global_buffer
      - .offset:         16
        .size:           8
        .value_kind:     by_value
      - .offset:         24
        .size:           4
        .value_kind:     by_value
      - .offset:         32
        .size:           8
        .value_kind:     by_value
      - .offset:         40
        .size:           4
        .value_kind:     by_value
      - .address_space:  global
        .offset:         48
        .size:           8
        .value_kind:     global_buffer
      - .offset:         56
        .size:           4
        .value_kind:     hidden_block_count_x
      - .offset:         60
        .size:           4
        .value_kind:     hidden_block_count_y
      - .offset:         64
        .size:           4
        .value_kind:     hidden_block_count_z
      - .offset:         68
        .size:           2
        .value_kind:     hidden_group_size_x
      - .offset:         70
        .size:           2
        .value_kind:     hidden_group_size_y
      - .offset:         72
        .size:           2
        .value_kind:     hidden_group_size_z
      - .offset:         74
        .size:           2
        .value_kind:     hidden_remainder_x
      - .offset:         76
        .size:           2
        .value_kind:     hidden_remainder_y
      - .offset:         78
        .size:           2
        .value_kind:     hidden_remainder_z
      - .offset:         96
        .size:           8
        .value_kind:     hidden_global_offset_x
      - .offset:         104
        .size:           8
        .value_kind:     hidden_global_offset_y
      - .offset:         112
        .size:           8
        .value_kind:     hidden_global_offset_z
      - .offset:         120
        .size:           2
        .value_kind:     hidden_grid_dims
    .group_segment_fixed_size: 256
    .kernarg_segment_align: 8
    .kernarg_segment_size: 312
    .language:       OpenCL C
    .language_version:
      - 2
      - 0
    .max_flat_workgroup_size: 512
    .name:           _ZL30rocblas_reduction_kernel_part1IiLi512ELi4E18rocblas_fetch_nrm2IfEPKPKffEviiT3_lT_liPT4_
    .private_segment_fixed_size: 0
    .sgpr_count:     26
    .sgpr_spill_count: 0
    .symbol:         _ZL30rocblas_reduction_kernel_part1IiLi512ELi4E18rocblas_fetch_nrm2IfEPKPKffEviiT3_lT_liPT4_.kd
    .uniform_work_group_size: 1
    .uses_dynamic_stack: false
    .vgpr_count:     9
    .vgpr_spill_count: 0
    .wavefront_size: 64
  - .args:
      - .offset:         0
        .size:           4
        .value_kind:     by_value
      - .offset:         4
        .size:           4
        .value_kind:     by_value
      - .address_space:  global
        .offset:         8
        .size:           8
        .value_kind:     global_buffer
      - .offset:         16
        .size:           8
        .value_kind:     by_value
      - .offset:         24
        .size:           4
        .value_kind:     by_value
      - .offset:         32
        .size:           8
        .value_kind:     by_value
      - .offset:         40
        .size:           4
        .value_kind:     by_value
      - .address_space:  global
        .offset:         48
        .size:           8
        .value_kind:     global_buffer
      - .offset:         56
        .size:           4
        .value_kind:     hidden_block_count_x
      - .offset:         60
        .size:           4
        .value_kind:     hidden_block_count_y
      - .offset:         64
        .size:           4
        .value_kind:     hidden_block_count_z
      - .offset:         68
        .size:           2
        .value_kind:     hidden_group_size_x
      - .offset:         70
        .size:           2
        .value_kind:     hidden_group_size_y
      - .offset:         72
        .size:           2
        .value_kind:     hidden_group_size_z
      - .offset:         74
        .size:           2
        .value_kind:     hidden_remainder_x
      - .offset:         76
        .size:           2
        .value_kind:     hidden_remainder_y
      - .offset:         78
        .size:           2
        .value_kind:     hidden_remainder_z
      - .offset:         96
        .size:           8
        .value_kind:     hidden_global_offset_x
      - .offset:         104
        .size:           8
        .value_kind:     hidden_global_offset_y
      - .offset:         112
        .size:           8
        .value_kind:     hidden_global_offset_z
      - .offset:         120
        .size:           2
        .value_kind:     hidden_grid_dims
    .group_segment_fixed_size: 512
    .kernarg_segment_align: 8
    .kernarg_segment_size: 312
    .language:       OpenCL C
    .language_version:
      - 2
      - 0
    .max_flat_workgroup_size: 512
    .name:           _ZL30rocblas_reduction_kernel_part1IiLi512ELi2E18rocblas_fetch_nrm2IdEPKddEviiT3_lT_liPT4_
    .private_segment_fixed_size: 0
    .sgpr_count:     25
    .sgpr_spill_count: 0
    .symbol:         _ZL30rocblas_reduction_kernel_part1IiLi512ELi2E18rocblas_fetch_nrm2IdEPKddEviiT3_lT_liPT4_.kd
    .uniform_work_group_size: 1
    .uses_dynamic_stack: false
    .vgpr_count:     11
    .vgpr_spill_count: 0
    .wavefront_size: 64
  - .args:
      - .offset:         0
        .size:           4
        .value_kind:     by_value
      - .actual_access:  read_only
        .address_space:  global
        .offset:         8
        .size:           8
        .value_kind:     global_buffer
      - .actual_access:  write_only
        .address_space:  global
        .offset:         16
        .size:           8
        .value_kind:     global_buffer
    .group_segment_fixed_size: 512
    .kernarg_segment_align: 8
    .kernarg_segment_size: 24
    .language:       OpenCL C
    .language_version:
      - 2
      - 0
    .max_flat_workgroup_size: 512
    .name:           _ZL30rocblas_reduction_kernel_part2ILi512ELi2E21rocblas_finalize_nrm2ddEviPT2_PT3_
    .private_segment_fixed_size: 0
    .sgpr_count:     20
    .sgpr_spill_count: 0
    .symbol:         _ZL30rocblas_reduction_kernel_part2ILi512ELi2E21rocblas_finalize_nrm2ddEviPT2_PT3_.kd
    .uniform_work_group_size: 1
    .uses_dynamic_stack: false
    .vgpr_count:     11
    .vgpr_spill_count: 0
    .wavefront_size: 64
  - .args:
      - .offset:         0
        .size:           4
        .value_kind:     by_value
      - .offset:         4
        .size:           4
        .value_kind:     by_value
      - .address_space:  global
        .offset:         8
        .size:           8
        .value_kind:     global_buffer
      - .offset:         16
        .size:           8
        .value_kind:     by_value
      - .offset:         24
        .size:           4
        .value_kind:     by_value
      - .offset:         32
        .size:           8
        .value_kind:     by_value
      - .offset:         40
        .size:           4
        .value_kind:     by_value
      - .address_space:  global
        .offset:         48
        .size:           8
        .value_kind:     global_buffer
      - .offset:         56
        .size:           4
        .value_kind:     hidden_block_count_x
      - .offset:         60
        .size:           4
        .value_kind:     hidden_block_count_y
      - .offset:         64
        .size:           4
        .value_kind:     hidden_block_count_z
      - .offset:         68
        .size:           2
        .value_kind:     hidden_group_size_x
      - .offset:         70
        .size:           2
        .value_kind:     hidden_group_size_y
      - .offset:         72
        .size:           2
        .value_kind:     hidden_group_size_z
      - .offset:         74
        .size:           2
        .value_kind:     hidden_remainder_x
      - .offset:         76
        .size:           2
        .value_kind:     hidden_remainder_y
      - .offset:         78
        .size:           2
        .value_kind:     hidden_remainder_z
      - .offset:         96
        .size:           8
        .value_kind:     hidden_global_offset_x
      - .offset:         104
        .size:           8
        .value_kind:     hidden_global_offset_y
      - .offset:         112
        .size:           8
        .value_kind:     hidden_global_offset_z
      - .offset:         120
        .size:           2
        .value_kind:     hidden_grid_dims
    .group_segment_fixed_size: 512
    .kernarg_segment_align: 8
    .kernarg_segment_size: 312
    .language:       OpenCL C
    .language_version:
      - 2
      - 0
    .max_flat_workgroup_size: 512
    .name:           _ZL30rocblas_reduction_kernel_part1IiLi512ELi2E18rocblas_fetch_nrm2IdEPKPKddEviiT3_lT_liPT4_
    .private_segment_fixed_size: 0
    .sgpr_count:     25
    .sgpr_spill_count: 0
    .symbol:         _ZL30rocblas_reduction_kernel_part1IiLi512ELi2E18rocblas_fetch_nrm2IdEPKPKddEviiT3_lT_liPT4_.kd
    .uniform_work_group_size: 1
    .uses_dynamic_stack: false
    .vgpr_count:     11
    .vgpr_spill_count: 0
    .wavefront_size: 64
  - .args:
      - .offset:         0
        .size:           4
        .value_kind:     by_value
      - .offset:         4
        .size:           4
        .value_kind:     by_value
      - .address_space:  global
        .offset:         8
        .size:           8
        .value_kind:     global_buffer
      - .offset:         16
        .size:           8
        .value_kind:     by_value
      - .offset:         24
        .size:           4
        .value_kind:     by_value
      - .offset:         32
        .size:           8
        .value_kind:     by_value
      - .offset:         40
        .size:           4
        .value_kind:     by_value
      - .address_space:  global
        .offset:         48
        .size:           8
        .value_kind:     global_buffer
      - .offset:         56
        .size:           4
        .value_kind:     hidden_block_count_x
      - .offset:         60
        .size:           4
        .value_kind:     hidden_block_count_y
      - .offset:         64
        .size:           4
        .value_kind:     hidden_block_count_z
      - .offset:         68
        .size:           2
        .value_kind:     hidden_group_size_x
      - .offset:         70
        .size:           2
        .value_kind:     hidden_group_size_y
      - .offset:         72
        .size:           2
        .value_kind:     hidden_group_size_z
      - .offset:         74
        .size:           2
        .value_kind:     hidden_remainder_x
      - .offset:         76
        .size:           2
        .value_kind:     hidden_remainder_y
      - .offset:         78
        .size:           2
        .value_kind:     hidden_remainder_z
      - .offset:         96
        .size:           8
        .value_kind:     hidden_global_offset_x
      - .offset:         104
        .size:           8
        .value_kind:     hidden_global_offset_y
      - .offset:         112
        .size:           8
        .value_kind:     hidden_global_offset_z
      - .offset:         120
        .size:           2
        .value_kind:     hidden_grid_dims
    .group_segment_fixed_size: 256
    .kernarg_segment_align: 8
    .kernarg_segment_size: 312
    .language:       OpenCL C
    .language_version:
      - 2
      - 0
    .max_flat_workgroup_size: 512
    .name:           _ZL30rocblas_reduction_kernel_part1IiLi512ELi4E18rocblas_fetch_nrm2IfEPK19rocblas_complex_numIfEfEviiT3_lT_liPT4_
    .private_segment_fixed_size: 0
    .sgpr_count:     27
    .sgpr_spill_count: 0
    .symbol:         _ZL30rocblas_reduction_kernel_part1IiLi512ELi4E18rocblas_fetch_nrm2IfEPK19rocblas_complex_numIfEfEviiT3_lT_liPT4_.kd
    .uniform_work_group_size: 1
    .uses_dynamic_stack: false
    .vgpr_count:     10
    .vgpr_spill_count: 0
    .wavefront_size: 64
  - .args:
      - .offset:         0
        .size:           4
        .value_kind:     by_value
      - .offset:         4
        .size:           4
        .value_kind:     by_value
      - .address_space:  global
        .offset:         8
        .size:           8
        .value_kind:     global_buffer
      - .offset:         16
        .size:           8
        .value_kind:     by_value
      - .offset:         24
        .size:           4
        .value_kind:     by_value
      - .offset:         32
        .size:           8
        .value_kind:     by_value
      - .offset:         40
        .size:           4
        .value_kind:     by_value
      - .address_space:  global
        .offset:         48
        .size:           8
        .value_kind:     global_buffer
      - .offset:         56
        .size:           4
        .value_kind:     hidden_block_count_x
      - .offset:         60
        .size:           4
        .value_kind:     hidden_block_count_y
      - .offset:         64
        .size:           4
        .value_kind:     hidden_block_count_z
      - .offset:         68
        .size:           2
        .value_kind:     hidden_group_size_x
      - .offset:         70
        .size:           2
        .value_kind:     hidden_group_size_y
      - .offset:         72
        .size:           2
        .value_kind:     hidden_group_size_z
      - .offset:         74
        .size:           2
        .value_kind:     hidden_remainder_x
      - .offset:         76
        .size:           2
        .value_kind:     hidden_remainder_y
      - .offset:         78
        .size:           2
        .value_kind:     hidden_remainder_z
      - .offset:         96
        .size:           8
        .value_kind:     hidden_global_offset_x
      - .offset:         104
        .size:           8
        .value_kind:     hidden_global_offset_y
      - .offset:         112
        .size:           8
        .value_kind:     hidden_global_offset_z
      - .offset:         120
        .size:           2
        .value_kind:     hidden_grid_dims
    .group_segment_fixed_size: 256
    .kernarg_segment_align: 8
    .kernarg_segment_size: 312
    .language:       OpenCL C
    .language_version:
      - 2
      - 0
    .max_flat_workgroup_size: 512
    .name:           _ZL30rocblas_reduction_kernel_part1IiLi512ELi4E18rocblas_fetch_nrm2IfEPKPK19rocblas_complex_numIfEfEviiT3_lT_liPT4_
    .private_segment_fixed_size: 0
    .sgpr_count:     26
    .sgpr_spill_count: 0
    .symbol:         _ZL30rocblas_reduction_kernel_part1IiLi512ELi4E18rocblas_fetch_nrm2IfEPKPK19rocblas_complex_numIfEfEviiT3_lT_liPT4_.kd
    .uniform_work_group_size: 1
    .uses_dynamic_stack: false
    .vgpr_count:     10
    .vgpr_spill_count: 0
    .wavefront_size: 64
  - .args:
      - .offset:         0
        .size:           4
        .value_kind:     by_value
      - .offset:         4
        .size:           4
        .value_kind:     by_value
      - .address_space:  global
        .offset:         8
        .size:           8
        .value_kind:     global_buffer
      - .offset:         16
        .size:           8
        .value_kind:     by_value
      - .offset:         24
        .size:           4
        .value_kind:     by_value
      - .offset:         32
        .size:           8
        .value_kind:     by_value
      - .offset:         40
        .size:           4
        .value_kind:     by_value
      - .address_space:  global
        .offset:         48
        .size:           8
        .value_kind:     global_buffer
      - .offset:         56
        .size:           4
        .value_kind:     hidden_block_count_x
      - .offset:         60
        .size:           4
        .value_kind:     hidden_block_count_y
      - .offset:         64
        .size:           4
        .value_kind:     hidden_block_count_z
      - .offset:         68
        .size:           2
        .value_kind:     hidden_group_size_x
      - .offset:         70
        .size:           2
        .value_kind:     hidden_group_size_y
      - .offset:         72
        .size:           2
        .value_kind:     hidden_group_size_z
      - .offset:         74
        .size:           2
        .value_kind:     hidden_remainder_x
      - .offset:         76
        .size:           2
        .value_kind:     hidden_remainder_y
      - .offset:         78
        .size:           2
        .value_kind:     hidden_remainder_z
      - .offset:         96
        .size:           8
        .value_kind:     hidden_global_offset_x
      - .offset:         104
        .size:           8
        .value_kind:     hidden_global_offset_y
      - .offset:         112
        .size:           8
        .value_kind:     hidden_global_offset_z
      - .offset:         120
        .size:           2
        .value_kind:     hidden_grid_dims
    .group_segment_fixed_size: 512
    .kernarg_segment_align: 8
    .kernarg_segment_size: 312
    .language:       OpenCL C
    .language_version:
      - 2
      - 0
    .max_flat_workgroup_size: 512
    .name:           _ZL30rocblas_reduction_kernel_part1IiLi512ELi2E18rocblas_fetch_nrm2IdEPK19rocblas_complex_numIdEdEviiT3_lT_liPT4_
    .private_segment_fixed_size: 0
    .sgpr_count:     25
    .sgpr_spill_count: 0
    .symbol:         _ZL30rocblas_reduction_kernel_part1IiLi512ELi2E18rocblas_fetch_nrm2IdEPK19rocblas_complex_numIdEdEviiT3_lT_liPT4_.kd
    .uniform_work_group_size: 1
    .uses_dynamic_stack: false
    .vgpr_count:     11
    .vgpr_spill_count: 0
    .wavefront_size: 64
  - .args:
      - .offset:         0
        .size:           4
        .value_kind:     by_value
      - .offset:         4
        .size:           4
        .value_kind:     by_value
      - .address_space:  global
        .offset:         8
        .size:           8
        .value_kind:     global_buffer
      - .offset:         16
        .size:           8
        .value_kind:     by_value
      - .offset:         24
        .size:           4
        .value_kind:     by_value
      - .offset:         32
        .size:           8
        .value_kind:     by_value
      - .offset:         40
        .size:           4
        .value_kind:     by_value
      - .address_space:  global
        .offset:         48
        .size:           8
        .value_kind:     global_buffer
      - .offset:         56
        .size:           4
        .value_kind:     hidden_block_count_x
      - .offset:         60
        .size:           4
        .value_kind:     hidden_block_count_y
      - .offset:         64
        .size:           4
        .value_kind:     hidden_block_count_z
      - .offset:         68
        .size:           2
        .value_kind:     hidden_group_size_x
      - .offset:         70
        .size:           2
        .value_kind:     hidden_group_size_y
      - .offset:         72
        .size:           2
        .value_kind:     hidden_group_size_z
      - .offset:         74
        .size:           2
        .value_kind:     hidden_remainder_x
      - .offset:         76
        .size:           2
        .value_kind:     hidden_remainder_y
      - .offset:         78
        .size:           2
        .value_kind:     hidden_remainder_z
      - .offset:         96
        .size:           8
        .value_kind:     hidden_global_offset_x
      - .offset:         104
        .size:           8
        .value_kind:     hidden_global_offset_y
      - .offset:         112
        .size:           8
        .value_kind:     hidden_global_offset_z
      - .offset:         120
        .size:           2
        .value_kind:     hidden_grid_dims
    .group_segment_fixed_size: 512
    .kernarg_segment_align: 8
    .kernarg_segment_size: 312
    .language:       OpenCL C
    .language_version:
      - 2
      - 0
    .max_flat_workgroup_size: 512
    .name:           _ZL30rocblas_reduction_kernel_part1IiLi512ELi2E18rocblas_fetch_nrm2IdEPKPK19rocblas_complex_numIdEdEviiT3_lT_liPT4_
    .private_segment_fixed_size: 0
    .sgpr_count:     25
    .sgpr_spill_count: 0
    .symbol:         _ZL30rocblas_reduction_kernel_part1IiLi512ELi2E18rocblas_fetch_nrm2IdEPKPK19rocblas_complex_numIdEdEviiT3_lT_liPT4_.kd
    .uniform_work_group_size: 1
    .uses_dynamic_stack: false
    .vgpr_count:     11
    .vgpr_spill_count: 0
    .wavefront_size: 64
  - .args:
      - .offset:         0
        .size:           4
        .value_kind:     by_value
      - .offset:         4
        .size:           4
        .value_kind:     by_value
      - .address_space:  global
        .offset:         8
        .size:           8
        .value_kind:     global_buffer
      - .offset:         16
        .size:           8
        .value_kind:     by_value
      - .offset:         24
        .size:           4
        .value_kind:     by_value
      - .offset:         32
        .size:           8
        .value_kind:     by_value
      - .offset:         40
        .size:           4
        .value_kind:     by_value
      - .address_space:  global
        .offset:         48
        .size:           8
        .value_kind:     global_buffer
      - .offset:         56
        .size:           4
        .value_kind:     hidden_block_count_x
      - .offset:         60
        .size:           4
        .value_kind:     hidden_block_count_y
      - .offset:         64
        .size:           4
        .value_kind:     hidden_block_count_z
      - .offset:         68
        .size:           2
        .value_kind:     hidden_group_size_x
      - .offset:         70
        .size:           2
        .value_kind:     hidden_group_size_y
      - .offset:         72
        .size:           2
        .value_kind:     hidden_group_size_z
      - .offset:         74
        .size:           2
        .value_kind:     hidden_remainder_x
      - .offset:         76
        .size:           2
        .value_kind:     hidden_remainder_y
      - .offset:         78
        .size:           2
        .value_kind:     hidden_remainder_z
      - .offset:         96
        .size:           8
        .value_kind:     hidden_global_offset_x
      - .offset:         104
        .size:           8
        .value_kind:     hidden_global_offset_y
      - .offset:         112
        .size:           8
        .value_kind:     hidden_global_offset_z
      - .offset:         120
        .size:           2
        .value_kind:     hidden_grid_dims
    .group_segment_fixed_size: 256
    .kernarg_segment_align: 8
    .kernarg_segment_size: 312
    .language:       OpenCL C
    .language_version:
      - 2
      - 0
    .max_flat_workgroup_size: 512
    .name:           _ZL30rocblas_reduction_kernel_part1IiLi512ELi4E18rocblas_fetch_nrm2IfEPKDF16_fEviiT3_lT_liPT4_
    .private_segment_fixed_size: 0
    .sgpr_count:     27
    .sgpr_spill_count: 0
    .symbol:         _ZL30rocblas_reduction_kernel_part1IiLi512ELi4E18rocblas_fetch_nrm2IfEPKDF16_fEviiT3_lT_liPT4_.kd
    .uniform_work_group_size: 1
    .uses_dynamic_stack: false
    .vgpr_count:     9
    .vgpr_spill_count: 0
    .wavefront_size: 64
  - .args:
      - .offset:         0
        .size:           4
        .value_kind:     by_value
      - .actual_access:  read_only
        .address_space:  global
        .offset:         8
        .size:           8
        .value_kind:     global_buffer
      - .actual_access:  write_only
        .address_space:  global
        .offset:         16
        .size:           8
        .value_kind:     global_buffer
    .group_segment_fixed_size: 256
    .kernarg_segment_align: 8
    .kernarg_segment_size: 24
    .language:       OpenCL C
    .language_version:
      - 2
      - 0
    .max_flat_workgroup_size: 512
    .name:           _ZL30rocblas_reduction_kernel_part2ILi512ELi4E21rocblas_finalize_nrm2fDF16_EviPT2_PT3_
    .private_segment_fixed_size: 0
    .sgpr_count:     18
    .sgpr_spill_count: 0
    .symbol:         _ZL30rocblas_reduction_kernel_part2ILi512ELi4E21rocblas_finalize_nrm2fDF16_EviPT2_PT3_.kd
    .uniform_work_group_size: 1
    .uses_dynamic_stack: false
    .vgpr_count:     9
    .vgpr_spill_count: 0
    .wavefront_size: 64
  - .args:
      - .offset:         0
        .size:           4
        .value_kind:     by_value
      - .offset:         4
        .size:           4
        .value_kind:     by_value
      - .address_space:  global
        .offset:         8
        .size:           8
        .value_kind:     global_buffer
      - .offset:         16
        .size:           8
        .value_kind:     by_value
      - .offset:         24
        .size:           4
        .value_kind:     by_value
      - .offset:         32
        .size:           8
        .value_kind:     by_value
      - .offset:         40
        .size:           4
        .value_kind:     by_value
      - .address_space:  global
        .offset:         48
        .size:           8
        .value_kind:     global_buffer
      - .offset:         56
        .size:           4
        .value_kind:     hidden_block_count_x
      - .offset:         60
        .size:           4
        .value_kind:     hidden_block_count_y
      - .offset:         64
        .size:           4
        .value_kind:     hidden_block_count_z
      - .offset:         68
        .size:           2
        .value_kind:     hidden_group_size_x
      - .offset:         70
        .size:           2
        .value_kind:     hidden_group_size_y
      - .offset:         72
        .size:           2
        .value_kind:     hidden_group_size_z
      - .offset:         74
        .size:           2
        .value_kind:     hidden_remainder_x
      - .offset:         76
        .size:           2
        .value_kind:     hidden_remainder_y
      - .offset:         78
        .size:           2
        .value_kind:     hidden_remainder_z
      - .offset:         96
        .size:           8
        .value_kind:     hidden_global_offset_x
      - .offset:         104
        .size:           8
        .value_kind:     hidden_global_offset_y
      - .offset:         112
        .size:           8
        .value_kind:     hidden_global_offset_z
      - .offset:         120
        .size:           2
        .value_kind:     hidden_grid_dims
    .group_segment_fixed_size: 256
    .kernarg_segment_align: 8
    .kernarg_segment_size: 312
    .language:       OpenCL C
    .language_version:
      - 2
      - 0
    .max_flat_workgroup_size: 512
    .name:           _ZL30rocblas_reduction_kernel_part1IiLi512ELi4E18rocblas_fetch_nrm2IfEPKPKDF16_fEviiT3_lT_liPT4_
    .private_segment_fixed_size: 0
    .sgpr_count:     26
    .sgpr_spill_count: 0
    .symbol:         _ZL30rocblas_reduction_kernel_part1IiLi512ELi4E18rocblas_fetch_nrm2IfEPKPKDF16_fEviiT3_lT_liPT4_.kd
    .uniform_work_group_size: 1
    .uses_dynamic_stack: false
    .vgpr_count:     9
    .vgpr_spill_count: 0
    .wavefront_size: 64
  - .args:
      - .offset:         0
        .size:           4
        .value_kind:     by_value
      - .offset:         4
        .size:           4
        .value_kind:     by_value
      - .address_space:  global
        .offset:         8
        .size:           8
        .value_kind:     global_buffer
      - .offset:         16
        .size:           8
        .value_kind:     by_value
      - .offset:         24
        .size:           4
        .value_kind:     by_value
      - .offset:         32
        .size:           8
        .value_kind:     by_value
      - .offset:         40
        .size:           4
        .value_kind:     by_value
      - .address_space:  global
        .offset:         48
        .size:           8
        .value_kind:     global_buffer
      - .offset:         56
        .size:           4
        .value_kind:     hidden_block_count_x
      - .offset:         60
        .size:           4
        .value_kind:     hidden_block_count_y
      - .offset:         64
        .size:           4
        .value_kind:     hidden_block_count_z
      - .offset:         68
        .size:           2
        .value_kind:     hidden_group_size_x
      - .offset:         70
        .size:           2
        .value_kind:     hidden_group_size_y
      - .offset:         72
        .size:           2
        .value_kind:     hidden_group_size_z
      - .offset:         74
        .size:           2
        .value_kind:     hidden_remainder_x
      - .offset:         76
        .size:           2
        .value_kind:     hidden_remainder_y
      - .offset:         78
        .size:           2
        .value_kind:     hidden_remainder_z
      - .offset:         96
        .size:           8
        .value_kind:     hidden_global_offset_x
      - .offset:         104
        .size:           8
        .value_kind:     hidden_global_offset_y
      - .offset:         112
        .size:           8
        .value_kind:     hidden_global_offset_z
      - .offset:         120
        .size:           2
        .value_kind:     hidden_grid_dims
    .group_segment_fixed_size: 256
    .kernarg_segment_align: 8
    .kernarg_segment_size: 312
    .language:       OpenCL C
    .language_version:
      - 2
      - 0
    .max_flat_workgroup_size: 512
    .name:           _ZL30rocblas_reduction_kernel_part1IiLi512ELi4E18rocblas_fetch_nrm2IfEPK16rocblas_bfloat16fEviiT3_lT_liPT4_
    .private_segment_fixed_size: 0
    .sgpr_count:     27
    .sgpr_spill_count: 0
    .symbol:         _ZL30rocblas_reduction_kernel_part1IiLi512ELi4E18rocblas_fetch_nrm2IfEPK16rocblas_bfloat16fEviiT3_lT_liPT4_.kd
    .uniform_work_group_size: 1
    .uses_dynamic_stack: false
    .vgpr_count:     9
    .vgpr_spill_count: 0
    .wavefront_size: 64
  - .args:
      - .offset:         0
        .size:           4
        .value_kind:     by_value
      - .actual_access:  read_only
        .address_space:  global
        .offset:         8
        .size:           8
        .value_kind:     global_buffer
      - .actual_access:  write_only
        .address_space:  global
        .offset:         16
        .size:           8
        .value_kind:     global_buffer
    .group_segment_fixed_size: 256
    .kernarg_segment_align: 8
    .kernarg_segment_size: 24
    .language:       OpenCL C
    .language_version:
      - 2
      - 0
    .max_flat_workgroup_size: 512
    .name:           _ZL30rocblas_reduction_kernel_part2ILi512ELi4E21rocblas_finalize_nrm2f16rocblas_bfloat16EviPT2_PT3_
    .private_segment_fixed_size: 0
    .sgpr_count:     18
    .sgpr_spill_count: 0
    .symbol:         _ZL30rocblas_reduction_kernel_part2ILi512ELi4E21rocblas_finalize_nrm2f16rocblas_bfloat16EviPT2_PT3_.kd
    .uniform_work_group_size: 1
    .uses_dynamic_stack: false
    .vgpr_count:     9
    .vgpr_spill_count: 0
    .wavefront_size: 64
  - .args:
      - .offset:         0
        .size:           4
        .value_kind:     by_value
      - .offset:         4
        .size:           4
        .value_kind:     by_value
      - .address_space:  global
        .offset:         8
        .size:           8
        .value_kind:     global_buffer
      - .offset:         16
        .size:           8
        .value_kind:     by_value
      - .offset:         24
        .size:           4
        .value_kind:     by_value
      - .offset:         32
        .size:           8
        .value_kind:     by_value
      - .offset:         40
        .size:           4
        .value_kind:     by_value
      - .address_space:  global
        .offset:         48
        .size:           8
        .value_kind:     global_buffer
      - .offset:         56
        .size:           4
        .value_kind:     hidden_block_count_x
      - .offset:         60
        .size:           4
        .value_kind:     hidden_block_count_y
      - .offset:         64
        .size:           4
        .value_kind:     hidden_block_count_z
      - .offset:         68
        .size:           2
        .value_kind:     hidden_group_size_x
      - .offset:         70
        .size:           2
        .value_kind:     hidden_group_size_y
      - .offset:         72
        .size:           2
        .value_kind:     hidden_group_size_z
      - .offset:         74
        .size:           2
        .value_kind:     hidden_remainder_x
      - .offset:         76
        .size:           2
        .value_kind:     hidden_remainder_y
      - .offset:         78
        .size:           2
        .value_kind:     hidden_remainder_z
      - .offset:         96
        .size:           8
        .value_kind:     hidden_global_offset_x
      - .offset:         104
        .size:           8
        .value_kind:     hidden_global_offset_y
      - .offset:         112
        .size:           8
        .value_kind:     hidden_global_offset_z
      - .offset:         120
        .size:           2
        .value_kind:     hidden_grid_dims
    .group_segment_fixed_size: 256
    .kernarg_segment_align: 8
    .kernarg_segment_size: 312
    .language:       OpenCL C
    .language_version:
      - 2
      - 0
    .max_flat_workgroup_size: 512
    .name:           _ZL30rocblas_reduction_kernel_part1IiLi512ELi4E18rocblas_fetch_nrm2IfEPKPK16rocblas_bfloat16fEviiT3_lT_liPT4_
    .private_segment_fixed_size: 0
    .sgpr_count:     25
    .sgpr_spill_count: 0
    .symbol:         _ZL30rocblas_reduction_kernel_part1IiLi512ELi4E18rocblas_fetch_nrm2IfEPKPK16rocblas_bfloat16fEviiT3_lT_liPT4_.kd
    .uniform_work_group_size: 1
    .uses_dynamic_stack: false
    .vgpr_count:     9
    .vgpr_spill_count: 0
    .wavefront_size: 64
amdhsa.target:   amdgcn-amd-amdhsa--gfx906
amdhsa.version:
  - 1
  - 2
...

	.end_amdgpu_metadata
